;; amdgpu-corpus repo=zjin-lcf/HeCBench kind=compiled arch=gfx90a opt=O3
	.text
	.amdgcn_target "amdgcn-amd-amdhsa--gfx90a"
	.amdhsa_code_object_version 6
	.protected	_Z17intt_3_64k_modcrtPjPKm ; -- Begin function _Z17intt_3_64k_modcrtPjPKm
	.globl	_Z17intt_3_64k_modcrtPjPKm
	.p2align	8
	.type	_Z17intt_3_64k_modcrtPjPKm,@function
_Z17intt_3_64k_modcrtPjPKm:             ; @_Z17intt_3_64k_modcrtPjPKm
; %bb.0:
	s_load_dwordx2 s[0:1], s[4:5], 0x8
	v_lshlrev_b32_e32 v1, 3, v0
	s_lshl_b32 s16, s6, 9
	v_and_b32_e32 v2, 0x1f0, v1
	v_and_b32_e32 v30, 1, v0
	v_or3_b32 v2, v30, v2, s16
	v_mov_b32_e32 v3, 0
	v_lshlrev_b64 v[2:3], 3, v[2:3]
	s_waitcnt lgkmcnt(0)
	v_mov_b32_e32 v4, s1
	v_add_co_u32_e32 v2, vcc, s0, v2
	v_addc_co_u32_e32 v3, vcc, v4, v3, vcc
	global_load_dwordx2 v[4:5], v[2:3], off
	global_load_dwordx2 v[6:7], v[2:3], off offset:64
	global_load_dwordx2 v[8:9], v[2:3], off offset:32
	;; [unrolled: 1-line block ×7, first 2 shown]
	s_mov_b32 s10, 0
	s_mov_b32 s11, -1
	s_mov_b64 s[12:13], 0xffffffff
	s_mov_b32 s8, 1
	s_mov_b32 s9, s11
	s_waitcnt vmcnt(6)
	v_add_co_u32_e32 v2, vcc, v6, v4
	v_addc_co_u32_e32 v3, vcc, v7, v5, vcc
	v_sub_co_u32_e32 v26, vcc, v4, v6
	v_subb_co_u32_e32 v27, vcc, v5, v7, vcc
	s_waitcnt vmcnt(4)
	v_add_co_u32_e32 v20, vcc, v10, v8
	v_addc_co_u32_e32 v21, vcc, v11, v9, vcc
	v_sub_co_u32_e32 v28, vcc, v8, v10
	v_subb_co_u32_e32 v29, vcc, v9, v11, vcc
	s_waitcnt vmcnt(2)
	v_add_co_u32_e32 v22, vcc, v14, v12
	v_addc_co_u32_e32 v23, vcc, v15, v13, vcc
	v_add_co_u32_e32 v24, vcc, -1, v2
	v_addc_co_u32_e32 v25, vcc, 0, v3, vcc
	v_add_co_u32_e32 v31, vcc, 1, v26
	v_addc_co_u32_e32 v32, vcc, -1, v27, vcc
	v_add_co_u32_e32 v33, vcc, -1, v20
	v_addc_co_u32_e32 v34, vcc, 0, v21, vcc
	v_add_co_u32_e32 v35, vcc, 1, v28
	v_addc_co_u32_e32 v36, vcc, -1, v29, vcc
	v_cmp_lt_u64_e32 vcc, v[2:3], v[6:7]
	v_cndmask_b32_e32 v25, v3, v25, vcc
	v_cndmask_b32_e32 v24, v2, v24, vcc
	v_cmp_lt_u64_e32 vcc, v[4:5], v[6:7]
	v_cndmask_b32_e32 v3, v27, v32, vcc
	v_cndmask_b32_e32 v2, v26, v31, vcc
	;; [unrolled: 3-line block ×4, first 2 shown]
	v_add_co_u32_e32 v6, vcc, -1, v24
	v_addc_co_u32_e32 v7, vcc, 0, v25, vcc
	v_add_co_u32_e32 v8, vcc, -1, v4
	v_addc_co_u32_e32 v9, vcc, 0, v5, vcc
	v_cmp_lt_u64_e32 vcc, s[10:11], v[24:25]
	v_cndmask_b32_e32 v7, v25, v7, vcc
	v_cndmask_b32_e32 v6, v24, v6, vcc
	v_cmp_lt_u64_e32 vcc, s[10:11], v[4:5]
	v_cndmask_b32_e32 v9, v5, v9, vcc
	v_cndmask_b32_e32 v8, v4, v8, vcc
	v_add_co_u32_e32 v4, vcc, -1, v22
	v_addc_co_u32_e32 v5, vcc, 0, v23, vcc
	v_cmp_lt_u64_e32 vcc, v[22:23], v[14:15]
	v_cndmask_b32_e32 v4, v22, v4, vcc
	v_cndmask_b32_e32 v5, v23, v5, vcc
	v_add_co_u32_e32 v10, vcc, -1, v4
	v_addc_co_u32_e32 v11, vcc, 0, v5, vcc
	v_cmp_lt_u64_e32 vcc, s[10:11], v[4:5]
	v_cndmask_b32_e32 v21, v5, v11, vcc
	v_cndmask_b32_e32 v20, v4, v10, vcc
	v_sub_co_u32_e32 v4, vcc, v12, v14
	v_subb_co_u32_e32 v5, vcc, v13, v15, vcc
	v_add_co_u32_e32 v10, vcc, 1, v4
	v_addc_co_u32_e32 v11, vcc, -1, v5, vcc
	v_cmp_lt_u64_e32 vcc, v[12:13], v[14:15]
	v_cndmask_b32_e32 v5, v5, v11, vcc
	v_cndmask_b32_e32 v4, v4, v10, vcc
	s_waitcnt vmcnt(0)
	v_add_co_u32_e32 v10, vcc, v18, v16
	v_addc_co_u32_e32 v11, vcc, v19, v17, vcc
	v_add_co_u32_e32 v12, vcc, -1, v10
	v_addc_co_u32_e32 v13, vcc, 0, v11, vcc
	v_cmp_lt_u64_e32 vcc, v[10:11], v[18:19]
	v_cndmask_b32_e32 v10, v10, v12, vcc
	v_cndmask_b32_e32 v11, v11, v13, vcc
	v_add_co_u32_e32 v12, vcc, -1, v10
	v_addc_co_u32_e32 v13, vcc, 0, v11, vcc
	v_cmp_lt_u64_e32 vcc, s[10:11], v[10:11]
	v_cndmask_b32_e32 v23, v11, v13, vcc
	v_cndmask_b32_e32 v22, v10, v12, vcc
	v_sub_co_u32_e32 v10, vcc, v16, v18
	v_subb_co_u32_e32 v11, vcc, v17, v19, vcc
	v_add_co_u32_e32 v12, vcc, 1, v10
	v_addc_co_u32_e32 v13, vcc, -1, v11, vcc
	v_cmp_lt_u64_e32 vcc, v[16:17], v[18:19]
	v_cndmask_b32_e32 v24, v11, v13, vcc
	v_cndmask_b32_e32 v16, v10, v12, vcc
	v_add_co_u32_e32 v10, vcc, v8, v6
	v_addc_co_u32_e32 v11, vcc, v9, v7, vcc
	v_add_co_u32_e32 v12, vcc, -1, v10
	v_addc_co_u32_e32 v13, vcc, 0, v11, vcc
	v_cmp_lt_u64_e32 vcc, v[10:11], v[8:9]
	v_cndmask_b32_e32 v10, v10, v12, vcc
	v_cndmask_b32_e32 v11, v11, v13, vcc
	v_add_co_u32_e32 v12, vcc, -1, v10
	v_addc_co_u32_e32 v13, vcc, 0, v11, vcc
	v_cmp_lt_u64_e32 vcc, s[10:11], v[10:11]
	v_cndmask_b32_e32 v12, v10, v12, vcc
	v_alignbit_b32 v14, v26, v27, 16
	v_lshlrev_b32_e32 v10, 16, v27
	v_cndmask_b32_e32 v13, v11, v13, vcc
	v_add_co_u32_e32 v10, vcc, v14, v10
	v_addc_co_u32_e64 v11, s[0:1], 0, 0, vcc
	v_cmp_eq_u32_e64 s[0:1], 0, v14
	v_cmp_ne_u32_e64 s[2:3], 0, v10
	s_or_b64 s[2:3], s[0:1], s[2:3]
	v_cmp_lt_u64_e32 vcc, s[12:13], v[10:11]
	v_cndmask_b32_e64 v11, -1, v10, s[2:3]
	v_add_u32_e32 v17, 1, v11
	v_sub_u32_e32 v15, 0, v14
	v_not_b32_e32 v14, v14
	v_cndmask_b32_e64 v18, v17, v11, s[0:1]
	v_cndmask_b32_e64 v10, v17, v10, s[0:1]
	s_and_b64 vcc, s[2:3], vcc
	v_cndmask_b32_e32 v17, v11, v18, vcc
	v_cndmask_b32_e32 v10, v11, v10, vcc
	;; [unrolled: 1-line block ×3, first 2 shown]
	v_cmp_lt_u32_sdwa s[2:3], v11, v26 src0_sel:DWORD src1_sel:WORD_1
	v_cmp_eq_u32_e32 vcc, 0, v10
	v_sub_u32_sdwa v10, v11, v26 dst_sel:DWORD dst_unused:UNUSED_PAD src0_sel:DWORD src1_sel:WORD_1
	v_add_co_u32_e64 v14, s[0:1], 1, v10
	s_and_b64 vcc, s[2:3], vcc
	v_cndmask_b32_e64 v11, -2, -1, s[0:1]
	v_cndmask_b32_e32 v10, v10, v14, vcc
	v_cndmask_b32_e32 v11, v17, v11, vcc
	v_add_co_u32_e32 v14, vcc, -1, v10
	v_addc_co_u32_e32 v15, vcc, 0, v11, vcc
	v_cmp_lt_u64_e32 vcc, s[8:9], v[10:11]
	v_cndmask_b32_e32 v18, v10, v14, vcc
	v_cndmask_b32_e32 v19, v11, v15, vcc
	v_add_co_u32_e32 v10, vcc, v18, v2
	v_addc_co_u32_e32 v11, vcc, v19, v3, vcc
	v_add_co_u32_e32 v14, vcc, -1, v10
	v_addc_co_u32_e32 v15, vcc, 0, v11, vcc
	v_cmp_lt_u64_e32 vcc, v[10:11], v[18:19]
	v_cndmask_b32_e32 v10, v10, v14, vcc
	v_cndmask_b32_e32 v11, v11, v15, vcc
	v_add_co_u32_e32 v14, vcc, -1, v10
	v_addc_co_u32_e32 v15, vcc, 0, v11, vcc
	v_cmp_lt_u64_e32 vcc, s[10:11], v[10:11]
	v_cndmask_b32_e32 v11, v11, v15, vcc
	v_cndmask_b32_e32 v10, v10, v14, vcc
	v_add_co_u32_e32 v14, vcc, v22, v20
	v_addc_co_u32_e32 v15, vcc, v23, v21, vcc
	v_add_co_u32_e32 v17, vcc, -1, v14
	v_addc_co_u32_e32 v25, vcc, 0, v15, vcc
	v_cmp_lt_u64_e32 vcc, v[14:15], v[22:23]
	v_cndmask_b32_e32 v14, v14, v17, vcc
	v_cndmask_b32_e32 v15, v15, v25, vcc
	v_add_co_u32_e32 v17, vcc, -1, v14
	v_addc_co_u32_e32 v25, vcc, 0, v15, vcc
	v_cmp_lt_u64_e32 vcc, s[10:11], v[14:15]
	v_cndmask_b32_e32 v15, v15, v25, vcc
	v_alignbit_b32 v25, v24, v16, 16
	v_lshlrev_b32_e32 v16, 16, v16
	v_cndmask_b32_e32 v14, v14, v17, vcc
	v_add_co_u32_e32 v16, vcc, v25, v16
	v_addc_co_u32_e64 v17, s[0:1], 0, 0, vcc
	v_cmp_eq_u32_e64 s[0:1], 0, v25
	v_cmp_ne_u32_e64 s[2:3], 0, v16
	s_or_b64 s[2:3], s[0:1], s[2:3]
	v_cmp_lt_u64_e32 vcc, s[12:13], v[16:17]
	v_cndmask_b32_e64 v17, -1, v16, s[2:3]
	v_add_u32_e32 v27, 1, v17
	v_sub_u32_e32 v26, 0, v25
	v_not_b32_e32 v25, v25
	v_cndmask_b32_e64 v28, v27, v17, s[0:1]
	v_cndmask_b32_e64 v16, v27, v16, s[0:1]
	s_and_b64 vcc, s[2:3], vcc
	v_cndmask_b32_e32 v27, v17, v28, vcc
	v_cndmask_b32_e32 v16, v17, v16, vcc
	;; [unrolled: 1-line block ×3, first 2 shown]
	v_cmp_lt_u32_sdwa s[2:3], v17, v24 src0_sel:DWORD src1_sel:WORD_1
	v_cmp_eq_u32_e32 vcc, 0, v16
	v_sub_u32_sdwa v16, v17, v24 dst_sel:DWORD dst_unused:UNUSED_PAD src0_sel:DWORD src1_sel:WORD_1
	v_add_co_u32_e64 v24, s[0:1], 1, v16
	s_and_b64 vcc, s[2:3], vcc
	v_cndmask_b32_e64 v17, -2, -1, s[0:1]
	v_cndmask_b32_e32 v16, v16, v24, vcc
	v_cndmask_b32_e32 v17, v27, v17, vcc
	v_add_co_u32_e32 v24, vcc, -1, v16
	v_addc_co_u32_e32 v25, vcc, 0, v17, vcc
	v_cmp_lt_u64_e32 vcc, s[8:9], v[16:17]
	v_cndmask_b32_e32 v24, v16, v24, vcc
	v_cndmask_b32_e32 v25, v17, v25, vcc
	v_add_co_u32_e32 v16, vcc, v24, v4
	v_addc_co_u32_e32 v17, vcc, v25, v5, vcc
	v_add_co_u32_e32 v26, vcc, -1, v16
	v_addc_co_u32_e32 v27, vcc, 0, v17, vcc
	v_cmp_lt_u64_e32 vcc, v[16:17], v[24:25]
	v_cndmask_b32_e32 v16, v16, v26, vcc
	v_cndmask_b32_e32 v17, v17, v27, vcc
	v_add_co_u32_e32 v26, vcc, -1, v16
	v_addc_co_u32_e32 v27, vcc, 0, v17, vcc
	v_cmp_lt_u64_e32 vcc, s[10:11], v[16:17]
	v_cndmask_b32_e32 v17, v17, v27, vcc
	v_cndmask_b32_e32 v26, v16, v26, vcc
	v_lshrrev_b32_e32 v27, 8, v17
	v_alignbit_b32 v16, v17, v26, 8
	v_add_co_u32_e32 v16, vcc, v16, v27
	v_addc_co_u32_e64 v17, s[0:1], 0, 0, vcc
	v_cmp_lt_u64_e32 vcc, s[12:13], v[16:17]
	v_lshlrev_b32_e32 v17, 24, v26
	v_cmp_ge_u32_e64 s[0:1], v17, v27
	v_cmp_ne_u32_e64 s[2:3], 0, v16
	s_or_b64 s[0:1], s[0:1], s[2:3]
	v_cndmask_b32_e64 v16, -1, v16, s[0:1]
	v_sub_u32_e32 v26, v17, v27
	v_add_u32_e32 v28, 1, v16
	v_cmp_eq_u32_e64 s[2:3], v17, v27
	v_cndmask_b32_e64 v17, v28, v16, s[2:3]
	v_add_u32_e32 v27, -1, v26
	s_and_b64 vcc, s[0:1], vcc
	v_cndmask_b32_e32 v17, v16, v17, vcc
	v_cndmask_b32_e32 v16, v26, v27, vcc
	v_add_co_u32_e32 v26, vcc, -1, v16
	v_addc_co_u32_e32 v27, vcc, 0, v17, vcc
	v_cmp_lt_u64_e32 vcc, s[8:9], v[16:17]
	v_cndmask_b32_e32 v16, v16, v26, vcc
	v_cndmask_b32_e32 v17, v17, v27, vcc
	v_add_co_u32_e32 v26, vcc, v16, v10
	v_addc_co_u32_e32 v27, vcc, v17, v11, vcc
	v_add_co_u32_e32 v28, vcc, -1, v26
	v_addc_co_u32_e32 v29, vcc, 0, v27, vcc
	v_cmp_lt_u64_e32 vcc, v[26:27], v[16:17]
	v_cndmask_b32_e32 v26, v26, v28, vcc
	v_cndmask_b32_e32 v27, v27, v29, vcc
	v_add_co_u32_e32 v28, vcc, -1, v26
	v_addc_co_u32_e32 v29, vcc, 0, v27, vcc
	v_cmp_lt_u64_e32 vcc, s[10:11], v[26:27]
	v_cndmask_b32_e32 v27, v27, v29, vcc
	v_cndmask_b32_e32 v26, v26, v28, vcc
	v_add_co_u32_e32 v32, vcc, v14, v12
	v_lshlrev_b32_e32 v28, 2, v0
	v_addc_co_u32_e32 v33, vcc, v15, v13, vcc
	v_and_b32_e32 v29, 4, v28
	v_add_co_u32_e32 v28, vcc, -1, v32
	v_addc_co_u32_e32 v31, vcc, 0, v33, vcc
	v_cmp_lt_u64_e32 vcc, v[32:33], v[14:15]
	v_cndmask_b32_e32 v32, v32, v28, vcc
	v_cndmask_b32_e32 v33, v33, v31, vcc
	v_add_co_u32_e32 v28, vcc, -1, v32
	v_addc_co_u32_e32 v31, vcc, 0, v33, vcc
	v_cmp_lt_u64_e32 vcc, s[10:11], v[32:33]
	v_cndmask_b32_e32 v32, v32, v28, vcc
	v_cndmask_b32_e32 v33, v33, v31, vcc
	v_add_co_u32_e32 v28, vcc, -1, v32
	v_addc_co_u32_e32 v31, vcc, 0, v33, vcc
	v_cmp_lt_u64_e32 vcc, s[8:9], v[32:33]
	v_cndmask_b32_e32 v33, v33, v31, vcc
	v_cndmask_b32_e32 v32, v32, v28, vcc
	v_lshlrev_b32_e32 v28, 6, v0
	v_cmp_eq_u32_e32 vcc, 1, v30
	ds_write_b64 v28, v[32:33]
	s_and_saveexec_b64 s[14:15], vcc
	s_cbranch_execz .LBB0_2
; %bb.1:
	v_mul_u32_u24_e32 v34, 3, v29
	v_sub_u32_e32 v30, 64, v34
	v_sub_u32_e32 v32, 32, v34
	v_lshrrev_b64 v[30:31], v30, v[26:27]
	v_lshrrev_b64 v[32:33], v32, v[26:27]
	v_add_co_u32_e64 v32, s[0:1], v32, v30
	v_lshlrev_b32_e32 v26, v34, v26
	v_cmp_ge_u32_e64 s[2:3], v26, v30
	v_cmp_ne_u32_e64 s[6:7], 0, v32
	s_or_b64 s[2:3], s[2:3], s[6:7]
	v_addc_co_u32_e64 v33, s[0:1], 0, v31, s[0:1]
	v_cndmask_b32_e64 v27, -1, v32, s[2:3]
	v_cmp_lt_u64_e64 s[0:1], s[12:13], v[32:33]
	v_sub_u32_e32 v31, v26, v30
	v_add_u32_e32 v32, 1, v27
	v_cmp_eq_u32_e64 s[6:7], v26, v30
	v_cndmask_b32_e64 v26, v32, v27, s[6:7]
	v_add_u32_e32 v30, -1, v31
	s_and_b64 s[0:1], s[2:3], s[0:1]
	v_cndmask_b32_e64 v27, v27, v26, s[0:1]
	v_cndmask_b32_e64 v26, v31, v30, s[0:1]
.LBB0_2:
	s_or_b64 exec, exec, s[14:15]
	v_sub_co_u32_e64 v30, s[0:1], v6, v8
	v_subb_co_u32_e64 v31, s[0:1], v7, v9, s[0:1]
	v_add_co_u32_e64 v32, s[0:1], 1, v30
	v_addc_co_u32_e64 v33, s[0:1], -1, v31, s[0:1]
	v_cmp_lt_u64_e64 s[0:1], v[6:7], v[8:9]
	v_cndmask_b32_e64 v7, v31, v33, s[0:1]
	v_cndmask_b32_e64 v6, v30, v32, s[0:1]
	v_sub_co_u32_e64 v8, s[0:1], v20, v22
	v_subb_co_u32_e64 v9, s[0:1], v21, v23, s[0:1]
	v_add_co_u32_e64 v30, s[0:1], 1, v8
	v_addc_co_u32_e64 v31, s[0:1], -1, v9, s[0:1]
	v_cmp_lt_u64_e64 s[0:1], v[20:21], v[22:23]
	v_cndmask_b32_e64 v20, v9, v31, s[0:1]
	v_cndmask_b32_e64 v8, v8, v30, s[0:1]
	v_alignbit_b32 v21, v20, v8, 16
	v_lshlrev_b32_e32 v8, 16, v8
	v_add_co_u32_e64 v8, s[0:1], v21, v8
	s_load_dwordx2 s[6:7], s[4:5], 0x0
	v_cmp_eq_u32_e64 s[2:3], 0, v21
	v_cmp_ne_u32_e64 s[4:5], 0, v8
	v_addc_co_u32_e64 v9, s[0:1], 0, 0, s[0:1]
	s_or_b64 s[4:5], s[2:3], s[4:5]
	v_cmp_lt_u64_e64 s[0:1], s[12:13], v[8:9]
	v_cndmask_b32_e64 v9, -1, v8, s[4:5]
	v_add_u32_e32 v23, 1, v9
	v_sub_u32_e32 v22, 0, v21
	v_not_b32_e32 v21, v21
	v_cndmask_b32_e64 v30, v23, v9, s[2:3]
	v_cndmask_b32_e64 v8, v23, v8, s[2:3]
	s_and_b64 s[0:1], s[4:5], s[0:1]
	v_cndmask_b32_e64 v23, v9, v30, s[0:1]
	v_cndmask_b32_e64 v8, v9, v8, s[0:1]
	;; [unrolled: 1-line block ×3, first 2 shown]
	v_cmp_lt_u32_sdwa s[4:5], v9, v20 src0_sel:DWORD src1_sel:WORD_1
	v_cmp_eq_u32_e64 s[0:1], 0, v8
	v_sub_u32_sdwa v8, v9, v20 dst_sel:DWORD dst_unused:UNUSED_PAD src0_sel:DWORD src1_sel:WORD_1
	v_add_co_u32_e64 v20, s[2:3], 1, v8
	s_and_b64 s[0:1], s[4:5], s[0:1]
	v_cndmask_b32_e64 v9, -2, -1, s[2:3]
	v_cndmask_b32_e64 v8, v8, v20, s[0:1]
	v_cndmask_b32_e64 v9, v23, v9, s[0:1]
	v_add_co_u32_e64 v20, s[0:1], -1, v8
	v_addc_co_u32_e64 v21, s[0:1], 0, v9, s[0:1]
	v_cmp_lt_u64_e64 s[0:1], s[8:9], v[8:9]
	v_cndmask_b32_e64 v8, v8, v20, s[0:1]
	v_cndmask_b32_e64 v9, v9, v21, s[0:1]
	v_add_co_u32_e64 v20, s[0:1], v8, v6
	v_addc_co_u32_e64 v21, s[0:1], v9, v7, s[0:1]
	v_add_co_u32_e64 v22, s[0:1], -1, v20
	v_addc_co_u32_e64 v23, s[0:1], 0, v21, s[0:1]
	v_cmp_lt_u64_e64 s[0:1], v[20:21], v[8:9]
	v_cndmask_b32_e64 v20, v20, v22, s[0:1]
	v_cndmask_b32_e64 v21, v21, v23, s[0:1]
	v_add_co_u32_e64 v22, s[0:1], -1, v20
	v_addc_co_u32_e64 v23, s[0:1], 0, v21, s[0:1]
	v_cmp_lt_u64_e64 s[0:1], s[10:11], v[20:21]
	v_cndmask_b32_e64 v21, v21, v23, s[0:1]
	v_cndmask_b32_e64 v20, v20, v22, s[0:1]
	;; [unrolled: 5-line block ×3, first 2 shown]
	ds_write_b64 v28, v[22:23] offset:8
	s_and_saveexec_b64 s[8:9], vcc
	s_cbranch_execz .LBB0_4
; %bb.3:
	v_mul_u32_u24_e32 v30, 6, v29
	v_sub_u32_e32 v22, 64, v30
	v_sub_u32_e32 v26, 32, v30
	v_lshrrev_b64 v[22:23], v22, v[20:21]
	v_lshrrev_b64 v[26:27], v26, v[20:21]
	v_lshlrev_b64 v[20:21], v30, v[20:21]
	v_add_co_u32_e64 v26, s[0:1], v26, v22
	v_cmp_ge_u32_e64 s[2:3], v20, v22
	v_cmp_ne_u32_e64 s[4:5], 0, v26
	v_addc_co_u32_e64 v27, s[0:1], 0, v23, s[0:1]
	s_or_b64 s[2:3], s[2:3], s[4:5]
	s_mov_b64 s[0:1], 0xffffffff
	v_cndmask_b32_e64 v21, -1, v26, s[2:3]
	v_cmp_lt_u64_e64 s[0:1], s[0:1], v[26:27]
	v_sub_u32_e32 v23, v20, v22
	v_add_u32_e32 v26, 1, v21
	v_cmp_eq_u32_e64 s[4:5], v20, v22
	v_cndmask_b32_e64 v20, v26, v21, s[4:5]
	v_add_u32_e32 v22, -1, v23
	s_and_b64 s[0:1], s[2:3], s[0:1]
	v_cndmask_b32_e64 v21, v21, v20, s[0:1]
	v_cndmask_b32_e64 v20, v23, v22, s[0:1]
.LBB0_4:
	s_or_b64 exec, exec, s[8:9]
	s_mov_b32 s8, 1
	v_add_co_u32_e64 v22, s[0:1], -1, v20
	s_mov_b32 s9, -1
	v_addc_co_u32_e64 v23, s[0:1], 0, v21, s[0:1]
	v_cmp_lt_u64_e64 s[0:1], s[8:9], v[20:21]
	v_cndmask_b32_e64 v21, v21, v23, s[0:1]
	v_cndmask_b32_e64 v20, v20, v22, s[0:1]
	ds_write_b64 v28, v[20:21] offset:16
	v_sub_co_u32_e64 v20, s[0:1], v2, v18
	v_subb_co_u32_e64 v21, s[0:1], v3, v19, s[0:1]
	v_add_co_u32_e64 v23, s[0:1], 1, v20
	v_addc_co_u32_e64 v26, s[0:1], -1, v21, s[0:1]
	v_cmp_lt_u64_e64 s[0:1], v[2:3], v[18:19]
	v_cndmask_b32_e64 v3, v21, v26, s[0:1]
	v_cndmask_b32_e64 v2, v20, v23, s[0:1]
	v_sub_co_u32_e64 v18, s[0:1], v4, v24
	v_subb_co_u32_e64 v19, s[0:1], v5, v25, s[0:1]
	v_add_co_u32_e64 v20, s[0:1], 1, v18
	v_addc_co_u32_e64 v21, s[0:1], -1, v19, s[0:1]
	v_cmp_lt_u64_e64 s[0:1], v[4:5], v[24:25]
	v_cndmask_b32_e64 v4, v19, v21, s[0:1]
	v_cndmask_b32_e64 v5, v18, v20, s[0:1]
	v_alignbit_b32 v18, v4, v5, 24
	v_lshlrev_b32_e32 v5, 8, v5
	v_sub_u32_e32 v19, 0, v5
	v_cmp_lt_u32_e64 s[0:1], v19, v18
	v_sub_u32_e32 v18, v19, v18
	v_cmp_eq_u32_e64 s[2:3], 0, v5
	v_cmp_eq_u32_e64 s[4:5], -1, v18
	v_cndmask_b32_e64 v19, -2, -1, s[4:5]
	s_and_b64 s[0:1], s[0:1], s[2:3]
	v_cndmask_b32_e64 v5, v5, v19, s[0:1]
	v_addc_co_u32_e64 v18, s[2:3], 0, v18, s[0:1]
	v_sub_u32_sdwa v19, v5, v4 dst_sel:DWORD dst_unused:UNUSED_PAD src0_sel:DWORD src1_sel:BYTE_3
	v_add_u32_e32 v20, -1, v19
	v_add_co_u32_e64 v21, s[0:1], 1, v18
	v_cndmask_b32_e64 v20, v20, v19, s[0:1]
	v_cmp_lt_u32_sdwa s[0:1], v5, v4 src0_sel:DWORD src1_sel:BYTE_3
	v_cndmask_b32_e64 v4, v18, v21, s[0:1]
	v_cndmask_b32_e64 v5, v19, v20, s[0:1]
	v_add_co_u32_e64 v18, s[0:1], -1, v4
	v_addc_co_u32_e64 v19, s[0:1], 0, v5, s[0:1]
	v_cmp_lt_u64_e64 s[0:1], s[8:9], v[4:5]
	v_cndmask_b32_e64 v4, v4, v18, s[0:1]
	v_cndmask_b32_e64 v5, v5, v19, s[0:1]
	v_add_co_u32_e64 v18, s[0:1], v4, v2
	v_addc_co_u32_e64 v19, s[0:1], v5, v3, s[0:1]
	v_add_co_u32_e64 v20, s[0:1], -1, v18
	v_addc_co_u32_e64 v21, s[0:1], 0, v19, s[0:1]
	v_cmp_lt_u64_e64 s[0:1], v[18:19], v[4:5]
	v_cndmask_b32_e64 v18, v18, v20, s[0:1]
	v_cndmask_b32_e64 v19, v19, v21, s[0:1]
	v_add_co_u32_e64 v20, s[0:1], -1, v18
	s_mov_b32 s10, 0
	s_mov_b32 s11, s9
	v_addc_co_u32_e64 v21, s[0:1], 0, v19, s[0:1]
	v_mul_u32_u24_e32 v22, 9, v29
	v_cmp_lt_u64_e64 s[0:1], s[10:11], v[18:19]
	v_cndmask_b32_e64 v19, v19, v21, s[0:1]
	v_cndmask_b32_e64 v18, v18, v20, s[0:1]
	v_cmp_lt_i32_e64 s[0:1], 23, v22
	s_mov_b64 s[2:3], 0
                                        ; implicit-def: $vgpr20_vgpr21
	s_and_saveexec_b64 s[4:5], s[0:1]
	s_xor_b64 s[8:9], exec, s[4:5]
	s_cbranch_execnz .LBB0_260
; %bb.5:
	s_andn2_saveexec_b64 s[4:5], s[8:9]
	s_cbranch_execnz .LBB0_267
.LBB0_6:
	s_or_b64 exec, exec, s[4:5]
	s_and_saveexec_b64 s[8:9], s[2:3]
	s_cbranch_execz .LBB0_8
.LBB0_7:
	v_sub_u32_e32 v20, 64, v22
	v_sub_u32_e32 v23, 32, v22
	v_lshrrev_b64 v[20:21], v20, v[18:19]
	v_lshrrev_b64 v[24:25], v23, v[18:19]
	v_lshlrev_b64 v[18:19], v22, v[18:19]
	v_add_co_u32_e64 v22, s[0:1], v24, v20
	v_cmp_ge_u32_e64 s[2:3], v18, v20
	v_cmp_ne_u32_e64 s[4:5], 0, v22
	v_addc_co_u32_e64 v23, s[0:1], 0, v21, s[0:1]
	s_or_b64 s[2:3], s[2:3], s[4:5]
	s_mov_b64 s[0:1], 0xffffffff
	v_cndmask_b32_e64 v19, -1, v22, s[2:3]
	v_cmp_lt_u64_e64 s[0:1], s[0:1], v[22:23]
	v_sub_u32_e32 v22, v18, v20
	v_add_u32_e32 v21, 1, v19
	v_cmp_eq_u32_e64 s[4:5], v18, v20
	v_cndmask_b32_e64 v18, v21, v19, s[4:5]
	v_add_u32_e32 v20, -1, v22
	s_and_b64 s[0:1], s[2:3], s[0:1]
	v_cndmask_b32_e64 v21, v19, v18, s[0:1]
	v_cndmask_b32_e64 v20, v22, v20, s[0:1]
.LBB0_8:
	s_or_b64 exec, exec, s[8:9]
	v_sub_co_u32_e64 v18, s[0:1], v12, v14
	v_subb_co_u32_e64 v19, s[0:1], v13, v15, s[0:1]
	v_add_co_u32_e64 v22, s[0:1], 1, v18
	v_addc_co_u32_e64 v23, s[0:1], -1, v19, s[0:1]
	v_cmp_lt_u64_e64 s[0:1], v[12:13], v[14:15]
	s_mov_b32 s4, 1
	v_cndmask_b32_e64 v13, v19, v23, s[0:1]
	v_cndmask_b32_e64 v12, v18, v22, s[0:1]
	v_add_co_u32_e64 v14, s[0:1], -1, v20
	s_mov_b32 s5, -1
	v_addc_co_u32_e64 v15, s[0:1], 0, v21, s[0:1]
	v_cmp_lt_u64_e64 s[0:1], s[4:5], v[20:21]
	s_mov_b64 s[2:3], 0xffffffff
	v_cndmask_b32_e64 v15, v21, v15, s[0:1]
	v_cndmask_b32_e64 v14, v20, v14, s[0:1]
	ds_write_b64 v28, v[14:15] offset:24
	s_and_saveexec_b64 s[8:9], vcc
	s_cbranch_execz .LBB0_10
; %bb.9:
	v_mul_u32_u24_e32 v18, 12, v29
	v_sub_u32_e32 v14, 0x60, v18
	v_lshrrev_b64 v[14:15], v14, v[12:13]
	v_sub_u32_e32 v15, 64, v18
	v_lshrrev_b64 v[18:19], v15, v[12:13]
	v_not_b32_e32 v15, 31
	v_mad_u32_u24 v15, v29, 12, v15
	v_lshlrev_b64 v[12:13], v15, v[12:13]
	v_add_co_u32_e32 v12, vcc, v18, v12
	v_addc_co_u32_e64 v13, s[0:1], 0, 0, vcc
	v_cmp_lt_u64_e32 vcc, s[2:3], v[12:13]
	v_cmp_eq_u32_e64 s[0:1], 0, v18
	v_cmp_ne_u32_e64 s[2:3], 0, v12
	s_or_b64 s[2:3], s[0:1], s[2:3]
	v_cndmask_b32_e64 v13, -1, v12, s[2:3]
	v_add_u32_e32 v19, 1, v13
	v_sub_u32_e32 v15, 0, v18
	v_not_b32_e32 v18, v18
	v_cndmask_b32_e64 v20, v19, v13, s[0:1]
	v_cndmask_b32_e64 v12, v19, v12, s[0:1]
	s_and_b64 vcc, s[2:3], vcc
	v_cndmask_b32_e32 v19, v13, v20, vcc
	v_cndmask_b32_e32 v12, v13, v12, vcc
	;; [unrolled: 1-line block ×3, first 2 shown]
	v_cmp_eq_u32_e64 s[0:1], 0, v12
	v_sub_u32_e32 v12, v13, v14
	v_cmp_lt_u32_e32 vcc, v13, v14
	v_add_co_u32_e64 v14, s[2:3], 1, v12
	v_cndmask_b32_e64 v13, -2, -1, s[2:3]
	s_and_b64 vcc, vcc, s[0:1]
	v_cndmask_b32_e32 v13, v19, v13, vcc
	v_cndmask_b32_e32 v12, v12, v14, vcc
.LBB0_10:
	s_or_b64 exec, exec, s[8:9]
	v_add_co_u32_e32 v14, vcc, -1, v12
	v_addc_co_u32_e32 v15, vcc, 0, v13, vcc
	v_cmp_lt_u64_e32 vcc, s[4:5], v[12:13]
	v_cndmask_b32_e32 v13, v13, v15, vcc
	v_cndmask_b32_e32 v12, v12, v14, vcc
	ds_write_b64 v28, v[12:13] offset:32
	v_sub_co_u32_e32 v13, vcc, v10, v16
	v_subb_co_u32_e32 v14, vcc, v11, v17, vcc
	v_add_co_u32_e32 v15, vcc, 1, v13
	v_addc_co_u32_e32 v18, vcc, -1, v14, vcc
	v_mul_u32_u24_e32 v12, 15, v29
	v_cmp_lt_u64_e32 vcc, v[10:11], v[16:17]
	v_cndmask_b32_e32 v11, v14, v18, vcc
	v_cndmask_b32_e32 v10, v13, v15, vcc
	v_cmp_lt_i32_e32 vcc, 35, v12
	s_and_saveexec_b64 s[0:1], vcc
	s_xor_b64 s[4:5], exec, s[0:1]
	s_cbranch_execz .LBB0_16
; %bb.11:
	v_cmp_lt_i32_e32 vcc, 47, v12
	s_mov_b64 s[2:3], 0
	s_and_saveexec_b64 s[0:1], vcc
	s_xor_b64 s[0:1], exec, s[0:1]
	s_cbranch_execnz .LBB0_289
; %bb.12:
	s_andn2_saveexec_b64 s[0:1], s[0:1]
	s_cbranch_execnz .LBB0_294
.LBB0_13:
	s_or_b64 exec, exec, s[0:1]
	s_and_saveexec_b64 s[8:9], s[2:3]
	s_cbranch_execz .LBB0_15
.LBB0_14:
	v_sub_u32_e32 v13, 0x60, v12
	v_lshrrev_b64 v[14:15], v13, v[10:11]
	v_sub_u32_e32 v13, 64, v12
	v_subrev_u32_e32 v12, 32, v12
	v_lshrrev_b64 v[16:17], v13, v[10:11]
	v_lshlrev_b64 v[10:11], v12, v[10:11]
	v_add_co_u32_e32 v10, vcc, v16, v10
	v_addc_co_u32_e64 v11, s[0:1], 0, 0, vcc
	s_mov_b64 s[0:1], 0xffffffff
	v_cmp_lt_u64_e32 vcc, s[0:1], v[10:11]
	v_cmp_eq_u32_e64 s[0:1], 0, v16
	v_cmp_ne_u32_e64 s[2:3], 0, v10
	s_or_b64 s[2:3], s[0:1], s[2:3]
	v_cndmask_b32_e64 v11, -1, v10, s[2:3]
	v_add_u32_e32 v15, 1, v11
	v_sub_u32_e32 v12, 0, v16
	v_not_b32_e32 v13, v16
	v_cndmask_b32_e64 v16, v15, v11, s[0:1]
	v_cndmask_b32_e64 v10, v15, v10, s[0:1]
	s_and_b64 vcc, s[2:3], vcc
	v_cndmask_b32_e32 v15, v11, v16, vcc
	v_cndmask_b32_e32 v10, v11, v10, vcc
	v_cndmask_b32_e32 v11, v12, v13, vcc
	v_cmp_eq_u32_e64 s[0:1], 0, v10
	v_sub_u32_e32 v10, v11, v14
	v_cmp_lt_u32_e32 vcc, v11, v14
	v_add_co_u32_e64 v12, s[2:3], 1, v10
	v_cndmask_b32_e64 v11, -2, -1, s[2:3]
	s_and_b64 vcc, vcc, s[0:1]
	v_cndmask_b32_e32 v11, v15, v11, vcc
	v_cndmask_b32_e32 v10, v10, v12, vcc
.LBB0_15:
	s_or_b64 exec, exec, s[8:9]
                                        ; implicit-def: $vgpr12
.LBB0_16:
	s_andn2_saveexec_b64 s[4:5], s[4:5]
	s_cbranch_execz .LBB0_22
; %bb.17:
	v_cmp_lt_i32_e32 vcc, 23, v12
	s_mov_b64 s[0:1], 0
	s_and_saveexec_b64 s[2:3], vcc
	s_xor_b64 s[2:3], exec, s[2:3]
	s_cbranch_execnz .LBB0_295
; %bb.18:
	s_andn2_saveexec_b64 s[2:3], s[2:3]
	s_cbranch_execnz .LBB0_296
.LBB0_19:
	s_or_b64 exec, exec, s[2:3]
	s_and_saveexec_b64 s[8:9], s[0:1]
	s_cbranch_execz .LBB0_21
.LBB0_20:
	v_sub_u32_e32 v13, 64, v12
	v_lshrrev_b64 v[14:15], v13, v[10:11]
	v_sub_u32_e32 v13, 32, v12
	v_lshrrev_b64 v[16:17], v13, v[10:11]
	v_lshlrev_b64 v[10:11], v12, v[10:11]
	v_add_co_u32_e32 v12, vcc, v16, v14
	v_addc_co_u32_e32 v13, vcc, 0, v15, vcc
	s_mov_b64 s[0:1], 0xffffffff
	v_cmp_lt_u64_e32 vcc, s[0:1], v[12:13]
	v_cmp_ge_u32_e64 s[0:1], v10, v14
	v_cmp_ne_u32_e64 s[2:3], 0, v12
	s_or_b64 s[0:1], s[0:1], s[2:3]
	v_cndmask_b32_e64 v11, -1, v12, s[0:1]
	v_sub_u32_e32 v12, v10, v14
	v_add_u32_e32 v13, 1, v11
	v_cmp_eq_u32_e64 s[2:3], v10, v14
	v_cndmask_b32_e64 v10, v13, v11, s[2:3]
	v_add_u32_e32 v13, -1, v12
	s_and_b64 vcc, s[0:1], vcc
	v_cndmask_b32_e32 v11, v11, v10, vcc
	v_cndmask_b32_e32 v10, v12, v13, vcc
.LBB0_21:
	s_or_b64 exec, exec, s[8:9]
.LBB0_22:
	s_or_b64 exec, exec, s[4:5]
	s_mov_b32 s0, 1
	v_add_co_u32_e32 v12, vcc, -1, v10
	s_mov_b32 s1, -1
	v_addc_co_u32_e32 v13, vcc, 0, v11, vcc
	v_cmp_lt_u64_e32 vcc, s[0:1], v[10:11]
	v_cndmask_b32_e32 v11, v11, v13, vcc
	v_cndmask_b32_e32 v10, v10, v12, vcc
	ds_write_b64 v28, v[10:11] offset:40
	v_sub_co_u32_e32 v11, vcc, v6, v8
	v_subb_co_u32_e32 v12, vcc, v7, v9, vcc
	v_add_co_u32_e32 v13, vcc, 1, v11
	v_addc_co_u32_e32 v14, vcc, -1, v12, vcc
	v_mul_u32_u24_e32 v10, 18, v29
	v_cmp_lt_u64_e32 vcc, v[6:7], v[8:9]
	v_cndmask_b32_e32 v7, v12, v14, vcc
	v_cndmask_b32_e32 v6, v11, v13, vcc
	v_cmp_lt_i32_e32 vcc, 47, v10
	s_and_saveexec_b64 s[0:1], vcc
	s_xor_b64 s[4:5], exec, s[0:1]
	s_cbranch_execz .LBB0_32
; %bb.23:
	s_movk_i32 s0, 0x47
	v_cmp_lt_i32_e32 vcc, s0, v10
	s_and_saveexec_b64 s[0:1], vcc
	s_xor_b64 s[8:9], exec, s[0:1]
	s_cbranch_execz .LBB0_27
; %bb.24:
	s_movk_i32 s0, 0x48
	v_cmp_eq_u32_e32 vcc, s0, v10
	s_and_saveexec_b64 s[10:11], vcc
	s_cbranch_execz .LBB0_26
; %bb.25:
	v_alignbit_b32 v8, v7, v6, 24
	v_lshlrev_b32_e32 v6, 8, v6
	v_sub_u32_e32 v9, 0, v6
	v_cmp_lt_u32_e32 vcc, v9, v8
	v_sub_u32_e32 v8, v9, v8
	v_cmp_eq_u32_e64 s[0:1], 0, v6
	v_cmp_eq_u32_e64 s[2:3], -1, v8
	v_cndmask_b32_e64 v9, -2, -1, s[2:3]
	s_and_b64 vcc, vcc, s[0:1]
	v_cndmask_b32_e32 v6, v6, v9, vcc
	v_addc_co_u32_e64 v8, s[0:1], 0, v8, vcc
	v_sub_u32_sdwa v9, v6, v7 dst_sel:DWORD dst_unused:UNUSED_PAD src0_sel:DWORD src1_sel:BYTE_3
	v_add_u32_e32 v10, -1, v9
	v_add_co_u32_e32 v11, vcc, 1, v8
	v_cndmask_b32_e32 v10, v10, v9, vcc
	v_cmp_lt_u32_sdwa vcc, v6, v7 src0_sel:DWORD src1_sel:BYTE_3
	v_cndmask_b32_e32 v6, v8, v11, vcc
	v_cndmask_b32_e32 v7, v9, v10, vcc
.LBB0_26:
	s_or_b64 exec, exec, s[10:11]
                                        ; implicit-def: $vgpr10
.LBB0_27:
	s_andn2_saveexec_b64 s[8:9], s[8:9]
	s_cbranch_execz .LBB0_31
; %bb.28:
	v_cmp_eq_u32_e32 vcc, 48, v10
	s_and_saveexec_b64 s[10:11], vcc
	s_cbranch_execz .LBB0_30
; %bb.29:
	v_alignbit_b32 v10, v7, v6, 16
	v_lshlrev_b32_e32 v6, 16, v6
	v_add_co_u32_e32 v8, vcc, v10, v6
	v_addc_co_u32_e64 v9, s[0:1], 0, 0, vcc
	s_mov_b64 s[0:1], 0xffffffff
	v_cmp_lt_u64_e32 vcc, s[0:1], v[8:9]
	v_cmp_eq_u32_e64 s[0:1], 0, v10
	v_cmp_ne_u32_e64 s[2:3], 0, v8
	s_or_b64 s[2:3], s[0:1], s[2:3]
	v_cndmask_b32_e64 v6, -1, v8, s[2:3]
	v_add_u32_e32 v11, 1, v6
	v_sub_u32_e32 v9, 0, v10
	v_not_b32_e32 v10, v10
	v_cndmask_b32_e64 v12, v11, v6, s[0:1]
	v_cndmask_b32_e64 v8, v11, v8, s[0:1]
	s_and_b64 vcc, s[2:3], vcc
	v_cndmask_b32_e32 v11, v6, v12, vcc
	v_cndmask_b32_e32 v6, v6, v8, vcc
	;; [unrolled: 1-line block ×3, first 2 shown]
	v_cmp_eq_u32_e32 vcc, 0, v6
	v_sub_u32_sdwa v6, v8, v7 dst_sel:DWORD dst_unused:UNUSED_PAD src0_sel:DWORD src1_sel:WORD_1
	v_cmp_lt_u32_sdwa s[2:3], v8, v7 src0_sel:DWORD src1_sel:WORD_1
	v_add_co_u32_e64 v8, s[0:1], 1, v6
	v_cndmask_b32_e64 v7, -2, -1, s[0:1]
	s_and_b64 vcc, s[2:3], vcc
	v_cndmask_b32_e32 v7, v11, v7, vcc
	v_cndmask_b32_e32 v6, v6, v8, vcc
.LBB0_30:
	s_or_b64 exec, exec, s[10:11]
.LBB0_31:
	s_or_b64 exec, exec, s[8:9]
                                        ; implicit-def: $vgpr10
.LBB0_32:
	s_andn2_saveexec_b64 s[4:5], s[4:5]
	s_cbranch_execz .LBB0_36
; %bb.33:
	v_cmp_eq_u32_e32 vcc, 24, v10
	s_and_saveexec_b64 s[8:9], vcc
	s_cbranch_execz .LBB0_35
; %bb.34:
	v_lshrrev_b32_e32 v8, 8, v7
	v_alignbit_b32 v7, v7, v6, 8
	v_lshlrev_b32_e32 v9, 24, v6
	v_add_co_u32_e32 v6, vcc, v7, v8
	v_addc_co_u32_e64 v7, s[0:1], 0, 0, vcc
	s_mov_b64 s[0:1], 0xffffffff
	v_cmp_lt_u64_e32 vcc, s[0:1], v[6:7]
	v_cmp_ge_u32_e64 s[0:1], v9, v8
	v_cmp_ne_u32_e64 s[2:3], 0, v6
	s_or_b64 s[0:1], s[0:1], s[2:3]
	v_cndmask_b32_e64 v6, -1, v6, s[0:1]
	v_sub_u32_e32 v10, v9, v8
	v_add_u32_e32 v7, 1, v6
	v_cmp_eq_u32_e64 s[2:3], v9, v8
	v_cndmask_b32_e64 v7, v7, v6, s[2:3]
	v_add_u32_e32 v8, -1, v10
	s_and_b64 vcc, s[0:1], vcc
	v_cndmask_b32_e32 v7, v6, v7, vcc
	v_cndmask_b32_e32 v6, v10, v8, vcc
.LBB0_35:
	s_or_b64 exec, exec, s[8:9]
.LBB0_36:
	s_or_b64 exec, exec, s[4:5]
	s_mov_b32 s0, 1
	v_add_co_u32_e32 v8, vcc, -1, v6
	s_mov_b32 s1, -1
	v_addc_co_u32_e32 v9, vcc, 0, v7, vcc
	v_cmp_lt_u64_e32 vcc, s[0:1], v[6:7]
	v_cndmask_b32_e32 v7, v7, v9, vcc
	v_cndmask_b32_e32 v6, v6, v8, vcc
	ds_write_b64 v28, v[6:7] offset:48
	v_sub_co_u32_e32 v7, vcc, v2, v4
	v_subb_co_u32_e32 v8, vcc, v3, v5, vcc
	v_add_co_u32_e32 v9, vcc, 1, v7
	v_addc_co_u32_e32 v10, vcc, -1, v8, vcc
	v_mul_u32_u24_e32 v6, 21, v29
	v_cmp_lt_u64_e32 vcc, v[2:3], v[4:5]
	v_cndmask_b32_e32 v3, v8, v10, vcc
	v_cndmask_b32_e32 v2, v7, v9, vcc
	v_cmp_lt_i32_e32 vcc, 47, v6
	s_mov_b64 s[4:5], 0
	s_mov_b64 s[0:1], 0
                                        ; implicit-def: $vgpr4_vgpr5
	s_and_saveexec_b64 s[2:3], vcc
	s_xor_b64 s[8:9], exec, s[2:3]
	s_cbranch_execnz .LBB0_268
; %bb.37:
	s_or_saveexec_b64 s[2:3], s[8:9]
	s_mov_b64 s[8:9], 0
	s_xor_b64 exec, exec, s[2:3]
	s_cbranch_execnz .LBB0_281
.LBB0_38:
	s_or_b64 exec, exec, s[2:3]
	v_sub_u32_e32 v7, 64, v6
	s_and_saveexec_b64 s[10:11], s[0:1]
	s_cbranch_execnz .LBB0_286
.LBB0_39:
	s_or_b64 exec, exec, s[10:11]
	s_mov_b64 s[0:1], 0
	s_and_saveexec_b64 s[2:3], s[4:5]
	s_cbranch_execnz .LBB0_287
.LBB0_40:
	s_or_b64 exec, exec, s[2:3]
	s_and_saveexec_b64 s[2:3], s[8:9]
	s_cbranch_execnz .LBB0_288
.LBB0_41:
	s_or_b64 exec, exec, s[2:3]
	s_and_saveexec_b64 s[4:5], s[0:1]
	s_cbranch_execz .LBB0_43
.LBB0_42:
	v_lshrrev_b64 v[4:5], v7, v[2:3]
	v_sub_u32_e32 v7, 32, v6
	v_lshrrev_b64 v[8:9], v7, v[2:3]
	v_lshlrev_b64 v[2:3], v6, v[2:3]
	v_add_co_u32_e32 v6, vcc, v8, v4
	v_addc_co_u32_e32 v7, vcc, 0, v5, vcc
	s_mov_b64 s[0:1], 0xffffffff
	v_cmp_lt_u64_e32 vcc, s[0:1], v[6:7]
	v_cmp_ge_u32_e64 s[0:1], v2, v4
	v_cmp_ne_u32_e64 s[2:3], 0, v6
	s_or_b64 s[0:1], s[0:1], s[2:3]
	v_cndmask_b32_e64 v3, -1, v6, s[0:1]
	v_sub_u32_e32 v6, v2, v4
	v_add_u32_e32 v5, 1, v3
	v_cmp_eq_u32_e64 s[2:3], v2, v4
	v_cndmask_b32_e64 v2, v5, v3, s[2:3]
	v_add_u32_e32 v4, -1, v6
	s_and_b64 vcc, s[0:1], vcc
	v_cndmask_b32_e32 v5, v3, v2, vcc
	v_cndmask_b32_e32 v4, v6, v4, vcc
.LBB0_43:
	s_or_b64 exec, exec, s[4:5]
	v_and_b32_e32 v25, 0x1c0, v1
	s_mov_b32 s0, 1
	v_add_co_u32_e32 v1, vcc, -1, v4
	s_mov_b32 s1, -1
	v_addc_co_u32_e32 v2, vcc, 0, v5, vcc
	v_and_b32_e32 v24, 7, v0
	v_cmp_lt_u64_e32 vcc, s[0:1], v[4:5]
	v_or_b32_e32 v0, v24, v25
	v_cndmask_b32_e32 v3, v5, v2, vcc
	v_cndmask_b32_e32 v2, v4, v1, vcc
	v_lshlrev_b32_e32 v0, 3, v0
	ds_write_b64 v28, v[2:3] offset:56
	s_waitcnt lgkmcnt(0)
	s_barrier
	ds_read2_b64 v[12:15], v0 offset1:8
	ds_read2_b64 v[8:11], v0 offset0:16 offset1:24
	ds_read2_b64 v[4:7], v0 offset0:32 offset1:40
	;; [unrolled: 1-line block ×3, first 2 shown]
	s_mov_b32 s2, 0
	s_waitcnt lgkmcnt(3)
	v_add_co_u32_e32 v16, vcc, v14, v12
	v_addc_co_u32_e32 v17, vcc, v15, v13, vcc
	v_add_co_u32_e32 v18, vcc, -1, v16
	v_addc_co_u32_e32 v19, vcc, 0, v17, vcc
	v_cmp_lt_u64_e32 vcc, v[16:17], v[14:15]
	v_cndmask_b32_e32 v16, v16, v18, vcc
	v_cndmask_b32_e32 v17, v17, v19, vcc
	v_add_co_u32_e32 v18, vcc, -1, v16
	s_mov_b32 s3, s1
	v_addc_co_u32_e32 v19, vcc, 0, v17, vcc
	v_cmp_lt_u64_e32 vcc, s[2:3], v[16:17]
	v_cndmask_b32_e32 v16, v16, v18, vcc
	v_cndmask_b32_e32 v17, v17, v19, vcc
	v_add_co_u32_e32 v18, vcc, -1, v16
	v_addc_co_u32_e32 v19, vcc, 0, v17, vcc
	v_cmp_lt_u64_e32 vcc, s[2:3], v[16:17]
	v_cndmask_b32_e32 v19, v17, v19, vcc
	v_cndmask_b32_e32 v18, v16, v18, vcc
	v_cmp_ne_u64_e32 vcc, 0, v[18:19]
	v_mov_b32_e32 v22, 0
	s_and_saveexec_b64 s[2:3], vcc
	s_cbranch_execz .LBB0_70
; %bb.44:
	s_mov_b32 s4, 0x10001
	s_mov_b32 s5, 0xfffeffff
	v_mov_b32_e32 v20, 0xfffeffff
	v_cmp_gt_u64_e32 vcc, s[4:5], v[18:19]
	v_mov_b32_e32 v21, 0x10001
	v_cndmask_b32_e32 v17, v20, v19, vcc
	v_cndmask_b32_e32 v16, v21, v18, vcc
	v_cmp_lt_u64_e32 vcc, s[4:5], v[18:19]
	v_cndmask_b32_e32 v18, v21, v18, vcc
	v_cndmask_b32_e32 v19, v20, v19, vcc
	v_add_co_u32_e32 v26, vcc, -1, v18
	v_not_b32_e32 v21, v19
	v_not_b32_e32 v20, v18
	v_addc_co_u32_e32 v27, vcc, 0, v19, vcc
	s_movk_i32 s12, 0xffc0
	s_mov_b64 s[4:5], 60
	v_pk_mov_b32 v[22:23], 0, 0
	s_branch .LBB0_47
.LBB0_45:                               ;   in Loop: Header=BB0_47 Depth=1
	s_or_b64 exec, exec, s[10:11]
.LBB0_46:                               ;   in Loop: Header=BB0_47 Depth=1
	s_or_b64 exec, exec, s[8:9]
	v_add_co_u32_e32 v28, vcc, -1, v22
	s_add_i32 s12, s12, 4
	v_addc_co_u32_e32 v29, vcc, 0, v23, vcc
	s_add_u32 s4, s4, -4
	v_cmp_gt_u64_e32 vcc, s[0:1], v[22:23]
	s_addc_u32 s5, s5, -1
	v_cndmask_b32_e32 v23, v29, v23, vcc
	s_cmp_lg_u32 s12, 0
	v_cndmask_b32_e32 v22, v28, v22, vcc
	s_cbranch_scc0 .LBB0_70
.LBB0_47:                               ; =>This Inner Loop Header: Depth=1
	v_lshlrev_b64 v[28:29], 1, v[22:23]
	v_add_co_u32_e32 v30, vcc, -1, v28
	v_addc_co_u32_e32 v31, vcc, 0, v29, vcc
	v_cmp_gt_i64_e32 vcc, 0, v[22:23]
	s_add_i32 s8, s4, 3
	v_cndmask_b32_e32 v23, v29, v31, vcc
	v_cndmask_b32_e32 v22, v28, v30, vcc
	v_lshrrev_b64 v[28:29], s8, v[16:17]
	v_and_b32_e32 v28, 1, v28
	v_cmp_eq_u32_e32 vcc, 1, v28
	s_and_saveexec_b64 s[8:9], vcc
	s_cbranch_execz .LBB0_53
; %bb.48:                               ;   in Loop: Header=BB0_47 Depth=1
	v_cmp_le_u64_e32 vcc, v[22:23], v[20:21]
	s_and_saveexec_b64 s[10:11], vcc
	s_xor_b64 s[10:11], exec, s[10:11]
; %bb.49:                               ;   in Loop: Header=BB0_47 Depth=1
	v_add_co_u32_e32 v22, vcc, v22, v18
	v_addc_co_u32_e32 v23, vcc, v23, v19, vcc
; %bb.50:                               ;   in Loop: Header=BB0_47 Depth=1
	s_andn2_saveexec_b64 s[10:11], s[10:11]
; %bb.51:                               ;   in Loop: Header=BB0_47 Depth=1
	v_add_co_u32_e32 v22, vcc, v26, v22
	v_addc_co_u32_e32 v23, vcc, v27, v23, vcc
; %bb.52:                               ;   in Loop: Header=BB0_47 Depth=1
	s_or_b64 exec, exec, s[10:11]
.LBB0_53:                               ;   in Loop: Header=BB0_47 Depth=1
	s_or_b64 exec, exec, s[8:9]
	v_add_co_u32_e32 v28, vcc, -1, v22
	v_addc_co_u32_e32 v29, vcc, 0, v23, vcc
	v_cmp_gt_u64_e32 vcc, s[0:1], v[22:23]
	v_cndmask_b32_e32 v23, v29, v23, vcc
	v_cndmask_b32_e32 v22, v28, v22, vcc
	v_lshlrev_b64 v[28:29], 1, v[22:23]
	v_add_co_u32_e32 v30, vcc, -1, v28
	v_addc_co_u32_e32 v31, vcc, 0, v29, vcc
	v_cmp_gt_i64_e32 vcc, 0, v[22:23]
	s_add_i32 s8, s4, 2
	v_cndmask_b32_e32 v23, v29, v31, vcc
	v_cndmask_b32_e32 v22, v28, v30, vcc
	v_lshrrev_b64 v[28:29], s8, v[16:17]
	v_and_b32_e32 v28, 1, v28
	v_cmp_eq_u32_e32 vcc, 1, v28
	s_and_saveexec_b64 s[8:9], vcc
	s_cbranch_execz .LBB0_59
; %bb.54:                               ;   in Loop: Header=BB0_47 Depth=1
	v_cmp_le_u64_e32 vcc, v[22:23], v[20:21]
	s_and_saveexec_b64 s[10:11], vcc
	s_xor_b64 s[10:11], exec, s[10:11]
; %bb.55:                               ;   in Loop: Header=BB0_47 Depth=1
	v_add_co_u32_e32 v22, vcc, v22, v18
	v_addc_co_u32_e32 v23, vcc, v23, v19, vcc
; %bb.56:                               ;   in Loop: Header=BB0_47 Depth=1
	s_andn2_saveexec_b64 s[10:11], s[10:11]
; %bb.57:                               ;   in Loop: Header=BB0_47 Depth=1
	v_add_co_u32_e32 v22, vcc, v26, v22
	v_addc_co_u32_e32 v23, vcc, v27, v23, vcc
; %bb.58:                               ;   in Loop: Header=BB0_47 Depth=1
	s_or_b64 exec, exec, s[10:11]
.LBB0_59:                               ;   in Loop: Header=BB0_47 Depth=1
	s_or_b64 exec, exec, s[8:9]
	v_add_co_u32_e32 v28, vcc, -1, v22
	v_addc_co_u32_e32 v29, vcc, 0, v23, vcc
	v_cmp_gt_u64_e32 vcc, s[0:1], v[22:23]
	v_cndmask_b32_e32 v23, v29, v23, vcc
	v_cndmask_b32_e32 v22, v28, v22, vcc
	v_lshlrev_b64 v[28:29], 1, v[22:23]
	v_add_co_u32_e32 v30, vcc, -1, v28
	v_addc_co_u32_e32 v31, vcc, 0, v29, vcc
	v_cmp_gt_i64_e32 vcc, 0, v[22:23]
	s_add_i32 s8, s4, 1
	v_cndmask_b32_e32 v23, v29, v31, vcc
	v_cndmask_b32_e32 v22, v28, v30, vcc
	v_lshrrev_b64 v[28:29], s8, v[16:17]
	v_and_b32_e32 v28, 1, v28
	v_cmp_eq_u32_e32 vcc, 1, v28
	s_and_saveexec_b64 s[8:9], vcc
	s_cbranch_execz .LBB0_65
; %bb.60:                               ;   in Loop: Header=BB0_47 Depth=1
	v_cmp_le_u64_e32 vcc, v[22:23], v[20:21]
	s_and_saveexec_b64 s[10:11], vcc
	s_xor_b64 s[10:11], exec, s[10:11]
; %bb.61:                               ;   in Loop: Header=BB0_47 Depth=1
	v_add_co_u32_e32 v22, vcc, v22, v18
	v_addc_co_u32_e32 v23, vcc, v23, v19, vcc
; %bb.62:                               ;   in Loop: Header=BB0_47 Depth=1
	s_andn2_saveexec_b64 s[10:11], s[10:11]
; %bb.63:                               ;   in Loop: Header=BB0_47 Depth=1
	v_add_co_u32_e32 v22, vcc, v26, v22
	v_addc_co_u32_e32 v23, vcc, v27, v23, vcc
; %bb.64:                               ;   in Loop: Header=BB0_47 Depth=1
	s_or_b64 exec, exec, s[10:11]
.LBB0_65:                               ;   in Loop: Header=BB0_47 Depth=1
	s_or_b64 exec, exec, s[8:9]
	v_add_co_u32_e32 v28, vcc, -1, v22
	v_addc_co_u32_e32 v29, vcc, 0, v23, vcc
	v_cmp_gt_u64_e32 vcc, s[0:1], v[22:23]
	v_cndmask_b32_e32 v23, v29, v23, vcc
	v_cndmask_b32_e32 v22, v28, v22, vcc
	v_lshlrev_b64 v[28:29], 1, v[22:23]
	v_add_co_u32_e32 v30, vcc, -1, v28
	v_addc_co_u32_e32 v31, vcc, 0, v29, vcc
	v_cmp_gt_i64_e32 vcc, 0, v[22:23]
	v_cndmask_b32_e32 v23, v29, v31, vcc
	v_cndmask_b32_e32 v22, v28, v30, vcc
	v_lshrrev_b64 v[28:29], s4, v[16:17]
	v_and_b32_e32 v28, 1, v28
	v_cmp_eq_u32_e32 vcc, 1, v28
	s_and_saveexec_b64 s[8:9], vcc
	s_cbranch_execz .LBB0_46
; %bb.66:                               ;   in Loop: Header=BB0_47 Depth=1
	v_cmp_le_u64_e32 vcc, v[22:23], v[20:21]
	s_and_saveexec_b64 s[10:11], vcc
	s_xor_b64 s[10:11], exec, s[10:11]
; %bb.67:                               ;   in Loop: Header=BB0_47 Depth=1
	v_add_co_u32_e32 v22, vcc, v22, v18
	v_addc_co_u32_e32 v23, vcc, v23, v19, vcc
; %bb.68:                               ;   in Loop: Header=BB0_47 Depth=1
	s_andn2_saveexec_b64 s[10:11], s[10:11]
	s_cbranch_execz .LBB0_45
; %bb.69:                               ;   in Loop: Header=BB0_47 Depth=1
	v_add_co_u32_e32 v22, vcc, v26, v22
	v_addc_co_u32_e32 v23, vcc, v27, v23, vcc
	s_branch .LBB0_45
.LBB0_70:
	s_or_b64 exec, exec, s[2:3]
	v_sub_co_u32_e32 v16, vcc, v12, v14
	v_subb_co_u32_e32 v17, vcc, v13, v15, vcc
	v_add_co_u32_e32 v18, vcc, 1, v16
	v_addc_co_u32_e32 v19, vcc, -1, v17, vcc
	v_cmp_lt_u64_e32 vcc, v[12:13], v[14:15]
	v_or_b32_e32 v14, s16, v25
	v_lshlrev_b32_e32 v20, 12, v24
	v_lshrrev_b32_e32 v23, 4, v14
	v_or_b32_e32 v14, v20, v23
	s_mov_b32 s0, 1
	v_cndmask_b32_e32 v12, v16, v18, vcc
	v_lshlrev_b32_e32 v14, 2, v14
	s_mov_b32 s1, -1
	v_cndmask_b32_e32 v13, v17, v19, vcc
	global_store_dword v14, v22, s[6:7]
	v_add_co_u32_e32 v14, vcc, -1, v12
	s_mov_b32 s2, 0
	s_mov_b32 s3, s1
	v_addc_co_u32_e32 v15, vcc, 0, v13, vcc
	v_cmp_lt_u64_e32 vcc, s[2:3], v[12:13]
	v_cndmask_b32_e32 v15, v13, v15, vcc
	v_cndmask_b32_e32 v14, v12, v14, vcc
	v_cmp_ne_u64_e32 vcc, 0, v[14:15]
	v_mov_b32_e32 v18, 0
	s_and_saveexec_b64 s[2:3], vcc
	s_cbranch_execz .LBB0_97
; %bb.71:
	s_mov_b32 s4, 0x10001
	s_mov_b32 s5, 0xfffeffff
	v_mov_b32_e32 v16, 0xfffeffff
	v_cmp_gt_u64_e32 vcc, s[4:5], v[14:15]
	v_mov_b32_e32 v17, 0x10001
	v_cndmask_b32_e32 v13, v16, v15, vcc
	v_cndmask_b32_e32 v12, v17, v14, vcc
	v_cmp_lt_u64_e32 vcc, s[4:5], v[14:15]
	v_cndmask_b32_e32 v14, v17, v14, vcc
	v_cndmask_b32_e32 v15, v16, v15, vcc
	v_add_co_u32_e32 v21, vcc, -1, v14
	v_not_b32_e32 v17, v15
	v_not_b32_e32 v16, v14
	v_addc_co_u32_e32 v22, vcc, 0, v15, vcc
	s_movk_i32 s12, 0xffc0
	s_mov_b64 s[4:5], 60
	v_pk_mov_b32 v[18:19], 0, 0
	s_branch .LBB0_74
.LBB0_72:                               ;   in Loop: Header=BB0_74 Depth=1
	s_or_b64 exec, exec, s[10:11]
.LBB0_73:                               ;   in Loop: Header=BB0_74 Depth=1
	s_or_b64 exec, exec, s[8:9]
	v_add_co_u32_e32 v25, vcc, -1, v18
	s_add_i32 s12, s12, 4
	v_addc_co_u32_e32 v26, vcc, 0, v19, vcc
	s_add_u32 s4, s4, -4
	v_cmp_gt_u64_e32 vcc, s[0:1], v[18:19]
	s_addc_u32 s5, s5, -1
	v_cndmask_b32_e32 v19, v26, v19, vcc
	s_cmp_lg_u32 s12, 0
	v_cndmask_b32_e32 v18, v25, v18, vcc
	s_cbranch_scc0 .LBB0_97
.LBB0_74:                               ; =>This Inner Loop Header: Depth=1
	v_lshlrev_b64 v[26:27], 1, v[18:19]
	v_add_co_u32_e32 v25, vcc, -1, v26
	v_addc_co_u32_e32 v28, vcc, 0, v27, vcc
	v_cmp_gt_i64_e32 vcc, 0, v[18:19]
	s_add_i32 s8, s4, 3
	v_cndmask_b32_e32 v19, v27, v28, vcc
	v_cndmask_b32_e32 v18, v26, v25, vcc
	v_lshrrev_b64 v[26:27], s8, v[12:13]
	v_and_b32_e32 v25, 1, v26
	v_cmp_eq_u32_e32 vcc, 1, v25
	s_and_saveexec_b64 s[8:9], vcc
	s_cbranch_execz .LBB0_80
; %bb.75:                               ;   in Loop: Header=BB0_74 Depth=1
	v_cmp_le_u64_e32 vcc, v[18:19], v[16:17]
	s_and_saveexec_b64 s[10:11], vcc
	s_xor_b64 s[10:11], exec, s[10:11]
; %bb.76:                               ;   in Loop: Header=BB0_74 Depth=1
	v_add_co_u32_e32 v18, vcc, v18, v14
	v_addc_co_u32_e32 v19, vcc, v19, v15, vcc
; %bb.77:                               ;   in Loop: Header=BB0_74 Depth=1
	s_andn2_saveexec_b64 s[10:11], s[10:11]
; %bb.78:                               ;   in Loop: Header=BB0_74 Depth=1
	v_add_co_u32_e32 v18, vcc, v21, v18
	v_addc_co_u32_e32 v19, vcc, v22, v19, vcc
; %bb.79:                               ;   in Loop: Header=BB0_74 Depth=1
	s_or_b64 exec, exec, s[10:11]
.LBB0_80:                               ;   in Loop: Header=BB0_74 Depth=1
	s_or_b64 exec, exec, s[8:9]
	v_add_co_u32_e32 v25, vcc, -1, v18
	v_addc_co_u32_e32 v26, vcc, 0, v19, vcc
	v_cmp_gt_u64_e32 vcc, s[0:1], v[18:19]
	v_cndmask_b32_e32 v19, v26, v19, vcc
	v_cndmask_b32_e32 v18, v25, v18, vcc
	v_lshlrev_b64 v[26:27], 1, v[18:19]
	v_add_co_u32_e32 v25, vcc, -1, v26
	v_addc_co_u32_e32 v28, vcc, 0, v27, vcc
	v_cmp_gt_i64_e32 vcc, 0, v[18:19]
	s_add_i32 s8, s4, 2
	v_cndmask_b32_e32 v19, v27, v28, vcc
	v_cndmask_b32_e32 v18, v26, v25, vcc
	v_lshrrev_b64 v[26:27], s8, v[12:13]
	v_and_b32_e32 v25, 1, v26
	v_cmp_eq_u32_e32 vcc, 1, v25
	s_and_saveexec_b64 s[8:9], vcc
	s_cbranch_execz .LBB0_86
; %bb.81:                               ;   in Loop: Header=BB0_74 Depth=1
	v_cmp_le_u64_e32 vcc, v[18:19], v[16:17]
	s_and_saveexec_b64 s[10:11], vcc
	s_xor_b64 s[10:11], exec, s[10:11]
; %bb.82:                               ;   in Loop: Header=BB0_74 Depth=1
	v_add_co_u32_e32 v18, vcc, v18, v14
	v_addc_co_u32_e32 v19, vcc, v19, v15, vcc
; %bb.83:                               ;   in Loop: Header=BB0_74 Depth=1
	s_andn2_saveexec_b64 s[10:11], s[10:11]
; %bb.84:                               ;   in Loop: Header=BB0_74 Depth=1
	v_add_co_u32_e32 v18, vcc, v21, v18
	v_addc_co_u32_e32 v19, vcc, v22, v19, vcc
; %bb.85:                               ;   in Loop: Header=BB0_74 Depth=1
	s_or_b64 exec, exec, s[10:11]
.LBB0_86:                               ;   in Loop: Header=BB0_74 Depth=1
	s_or_b64 exec, exec, s[8:9]
	v_add_co_u32_e32 v25, vcc, -1, v18
	v_addc_co_u32_e32 v26, vcc, 0, v19, vcc
	v_cmp_gt_u64_e32 vcc, s[0:1], v[18:19]
	v_cndmask_b32_e32 v19, v26, v19, vcc
	v_cndmask_b32_e32 v18, v25, v18, vcc
	;; [unrolled: 33-line block ×3, first 2 shown]
	v_lshlrev_b64 v[26:27], 1, v[18:19]
	v_add_co_u32_e32 v25, vcc, -1, v26
	v_addc_co_u32_e32 v28, vcc, 0, v27, vcc
	v_cmp_gt_i64_e32 vcc, 0, v[18:19]
	v_cndmask_b32_e32 v19, v27, v28, vcc
	v_cndmask_b32_e32 v18, v26, v25, vcc
	v_lshrrev_b64 v[26:27], s4, v[12:13]
	v_and_b32_e32 v25, 1, v26
	v_cmp_eq_u32_e32 vcc, 1, v25
	s_and_saveexec_b64 s[8:9], vcc
	s_cbranch_execz .LBB0_73
; %bb.93:                               ;   in Loop: Header=BB0_74 Depth=1
	v_cmp_le_u64_e32 vcc, v[18:19], v[16:17]
	s_and_saveexec_b64 s[10:11], vcc
	s_xor_b64 s[10:11], exec, s[10:11]
; %bb.94:                               ;   in Loop: Header=BB0_74 Depth=1
	v_add_co_u32_e32 v18, vcc, v18, v14
	v_addc_co_u32_e32 v19, vcc, v19, v15, vcc
; %bb.95:                               ;   in Loop: Header=BB0_74 Depth=1
	s_andn2_saveexec_b64 s[10:11], s[10:11]
	s_cbranch_execz .LBB0_72
; %bb.96:                               ;   in Loop: Header=BB0_74 Depth=1
	v_add_co_u32_e32 v18, vcc, v21, v18
	v_addc_co_u32_e32 v19, vcc, v22, v19, vcc
	s_branch .LBB0_72
.LBB0_97:
	s_or_b64 exec, exec, s[2:3]
	s_waitcnt lgkmcnt(2)
	v_add_co_u32_e32 v12, vcc, v10, v8
	v_addc_co_u32_e32 v13, vcc, v11, v9, vcc
	v_add_co_u32_e32 v14, vcc, -1, v12
	v_addc_co_u32_e32 v15, vcc, 0, v13, vcc
	v_cmp_lt_u64_e32 vcc, v[12:13], v[10:11]
	v_cndmask_b32_e32 v12, v12, v14, vcc
	v_cndmask_b32_e32 v13, v13, v15, vcc
	v_add_co_u32_e32 v14, vcc, -1, v12
	s_mov_b32 s1, -1
	s_mov_b32 s0, 0
	v_addc_co_u32_e32 v15, vcc, 0, v13, vcc
	v_cmp_lt_u64_e32 vcc, s[0:1], v[12:13]
	v_lshlrev_b32_e32 v21, 14, v24
	v_cndmask_b32_e32 v12, v12, v14, vcc
	v_lshlrev_b32_e32 v14, 2, v23
	s_mov_b32 s2, 0x20000
	v_or3_b32 v14, v21, v14, s2
	v_cndmask_b32_e32 v13, v13, v15, vcc
	global_store_dword v14, v18, s[6:7]
	v_add_co_u32_e32 v14, vcc, -1, v12
	v_addc_co_u32_e32 v15, vcc, 0, v13, vcc
	v_cmp_lt_u64_e32 vcc, s[0:1], v[12:13]
	v_cndmask_b32_e32 v15, v13, v15, vcc
	v_cndmask_b32_e32 v14, v12, v14, vcc
	v_cmp_ne_u64_e32 vcc, 0, v[14:15]
	v_mov_b32_e32 v18, 0
	s_and_saveexec_b64 s[2:3], vcc
	s_cbranch_execz .LBB0_124
; %bb.98:
	s_mov_b32 s4, 0x10001
	s_mov_b32 s5, 0xfffeffff
	v_mov_b32_e32 v16, 0xfffeffff
	v_cmp_gt_u64_e32 vcc, s[4:5], v[14:15]
	v_mov_b32_e32 v17, 0x10001
	v_cndmask_b32_e32 v13, v16, v15, vcc
	v_cndmask_b32_e32 v12, v17, v14, vcc
	v_cmp_lt_u64_e32 vcc, s[4:5], v[14:15]
	v_cndmask_b32_e32 v14, v17, v14, vcc
	v_cndmask_b32_e32 v15, v16, v15, vcc
	v_add_co_u32_e32 v22, vcc, -1, v14
	v_not_b32_e32 v17, v15
	v_not_b32_e32 v16, v14
	v_addc_co_u32_e32 v24, vcc, 0, v15, vcc
	s_movk_i32 s12, 0xffc0
	s_mov_b64 s[4:5], 60
	v_pk_mov_b32 v[18:19], 0, 0
	s_mov_b32 s0, 1
	s_branch .LBB0_101
.LBB0_99:                               ;   in Loop: Header=BB0_101 Depth=1
	s_or_b64 exec, exec, s[10:11]
.LBB0_100:                              ;   in Loop: Header=BB0_101 Depth=1
	s_or_b64 exec, exec, s[8:9]
	v_add_co_u32_e32 v25, vcc, -1, v18
	s_add_i32 s12, s12, 4
	v_addc_co_u32_e32 v26, vcc, 0, v19, vcc
	s_add_u32 s4, s4, -4
	v_cmp_gt_u64_e32 vcc, s[0:1], v[18:19]
	s_addc_u32 s5, s5, -1
	v_cndmask_b32_e32 v19, v26, v19, vcc
	s_cmp_lg_u32 s12, 0
	v_cndmask_b32_e32 v18, v25, v18, vcc
	s_cbranch_scc0 .LBB0_124
.LBB0_101:                              ; =>This Inner Loop Header: Depth=1
	v_lshlrev_b64 v[26:27], 1, v[18:19]
	v_add_co_u32_e32 v25, vcc, -1, v26
	v_addc_co_u32_e32 v28, vcc, 0, v27, vcc
	v_cmp_gt_i64_e32 vcc, 0, v[18:19]
	s_add_i32 s8, s4, 3
	v_cndmask_b32_e32 v19, v27, v28, vcc
	v_cndmask_b32_e32 v18, v26, v25, vcc
	v_lshrrev_b64 v[26:27], s8, v[12:13]
	v_and_b32_e32 v25, 1, v26
	v_cmp_eq_u32_e32 vcc, 1, v25
	s_and_saveexec_b64 s[8:9], vcc
	s_cbranch_execz .LBB0_107
; %bb.102:                              ;   in Loop: Header=BB0_101 Depth=1
	v_cmp_le_u64_e32 vcc, v[18:19], v[16:17]
	s_and_saveexec_b64 s[10:11], vcc
	s_xor_b64 s[10:11], exec, s[10:11]
; %bb.103:                              ;   in Loop: Header=BB0_101 Depth=1
	v_add_co_u32_e32 v18, vcc, v18, v14
	v_addc_co_u32_e32 v19, vcc, v19, v15, vcc
; %bb.104:                              ;   in Loop: Header=BB0_101 Depth=1
	s_andn2_saveexec_b64 s[10:11], s[10:11]
; %bb.105:                              ;   in Loop: Header=BB0_101 Depth=1
	v_add_co_u32_e32 v18, vcc, v22, v18
	v_addc_co_u32_e32 v19, vcc, v24, v19, vcc
; %bb.106:                              ;   in Loop: Header=BB0_101 Depth=1
	s_or_b64 exec, exec, s[10:11]
.LBB0_107:                              ;   in Loop: Header=BB0_101 Depth=1
	s_or_b64 exec, exec, s[8:9]
	v_add_co_u32_e32 v25, vcc, -1, v18
	v_addc_co_u32_e32 v26, vcc, 0, v19, vcc
	v_cmp_gt_u64_e32 vcc, s[0:1], v[18:19]
	v_cndmask_b32_e32 v19, v26, v19, vcc
	v_cndmask_b32_e32 v18, v25, v18, vcc
	v_lshlrev_b64 v[26:27], 1, v[18:19]
	v_add_co_u32_e32 v25, vcc, -1, v26
	v_addc_co_u32_e32 v28, vcc, 0, v27, vcc
	v_cmp_gt_i64_e32 vcc, 0, v[18:19]
	s_add_i32 s8, s4, 2
	v_cndmask_b32_e32 v19, v27, v28, vcc
	v_cndmask_b32_e32 v18, v26, v25, vcc
	v_lshrrev_b64 v[26:27], s8, v[12:13]
	v_and_b32_e32 v25, 1, v26
	v_cmp_eq_u32_e32 vcc, 1, v25
	s_and_saveexec_b64 s[8:9], vcc
	s_cbranch_execz .LBB0_113
; %bb.108:                              ;   in Loop: Header=BB0_101 Depth=1
	v_cmp_le_u64_e32 vcc, v[18:19], v[16:17]
	s_and_saveexec_b64 s[10:11], vcc
	s_xor_b64 s[10:11], exec, s[10:11]
; %bb.109:                              ;   in Loop: Header=BB0_101 Depth=1
	v_add_co_u32_e32 v18, vcc, v18, v14
	v_addc_co_u32_e32 v19, vcc, v19, v15, vcc
; %bb.110:                              ;   in Loop: Header=BB0_101 Depth=1
	s_andn2_saveexec_b64 s[10:11], s[10:11]
; %bb.111:                              ;   in Loop: Header=BB0_101 Depth=1
	v_add_co_u32_e32 v18, vcc, v22, v18
	v_addc_co_u32_e32 v19, vcc, v24, v19, vcc
; %bb.112:                              ;   in Loop: Header=BB0_101 Depth=1
	s_or_b64 exec, exec, s[10:11]
.LBB0_113:                              ;   in Loop: Header=BB0_101 Depth=1
	s_or_b64 exec, exec, s[8:9]
	v_add_co_u32_e32 v25, vcc, -1, v18
	v_addc_co_u32_e32 v26, vcc, 0, v19, vcc
	v_cmp_gt_u64_e32 vcc, s[0:1], v[18:19]
	v_cndmask_b32_e32 v19, v26, v19, vcc
	v_cndmask_b32_e32 v18, v25, v18, vcc
	;; [unrolled: 33-line block ×3, first 2 shown]
	v_lshlrev_b64 v[26:27], 1, v[18:19]
	v_add_co_u32_e32 v25, vcc, -1, v26
	v_addc_co_u32_e32 v28, vcc, 0, v27, vcc
	v_cmp_gt_i64_e32 vcc, 0, v[18:19]
	v_cndmask_b32_e32 v19, v27, v28, vcc
	v_cndmask_b32_e32 v18, v26, v25, vcc
	v_lshrrev_b64 v[26:27], s4, v[12:13]
	v_and_b32_e32 v25, 1, v26
	v_cmp_eq_u32_e32 vcc, 1, v25
	s_and_saveexec_b64 s[8:9], vcc
	s_cbranch_execz .LBB0_100
; %bb.120:                              ;   in Loop: Header=BB0_101 Depth=1
	v_cmp_le_u64_e32 vcc, v[18:19], v[16:17]
	s_and_saveexec_b64 s[10:11], vcc
	s_xor_b64 s[10:11], exec, s[10:11]
; %bb.121:                              ;   in Loop: Header=BB0_101 Depth=1
	v_add_co_u32_e32 v18, vcc, v18, v14
	v_addc_co_u32_e32 v19, vcc, v19, v15, vcc
; %bb.122:                              ;   in Loop: Header=BB0_101 Depth=1
	s_andn2_saveexec_b64 s[10:11], s[10:11]
	s_cbranch_execz .LBB0_99
; %bb.123:                              ;   in Loop: Header=BB0_101 Depth=1
	v_add_co_u32_e32 v18, vcc, v22, v18
	v_addc_co_u32_e32 v19, vcc, v24, v19, vcc
	s_branch .LBB0_99
.LBB0_124:
	s_or_b64 exec, exec, s[2:3]
	v_sub_co_u32_e32 v12, vcc, v8, v10
	v_subb_co_u32_e32 v13, vcc, v9, v11, vcc
	v_add_co_u32_e32 v14, vcc, 1, v12
	v_addc_co_u32_e32 v15, vcc, -1, v13, vcc
	v_or_b32_e32 v16, 1, v23
	v_cmp_lt_u64_e32 vcc, v[8:9], v[10:11]
	v_or_b32_e32 v10, v20, v16
	s_mov_b32 s0, 1
	v_cndmask_b32_e32 v8, v12, v14, vcc
	v_lshlrev_b32_e32 v10, 2, v10
	s_mov_b32 s1, -1
	v_cndmask_b32_e32 v9, v13, v15, vcc
	global_store_dword v10, v18, s[6:7]
	v_add_co_u32_e32 v10, vcc, -1, v8
	s_mov_b32 s2, 0
	s_mov_b32 s3, s1
	v_addc_co_u32_e32 v11, vcc, 0, v9, vcc
	v_cmp_lt_u64_e32 vcc, s[2:3], v[8:9]
	v_cndmask_b32_e32 v11, v9, v11, vcc
	v_cndmask_b32_e32 v10, v8, v10, vcc
	v_cmp_ne_u64_e32 vcc, 0, v[10:11]
	v_mov_b32_e32 v14, 0
	s_and_saveexec_b64 s[2:3], vcc
	s_cbranch_execz .LBB0_151
; %bb.125:
	s_mov_b32 s4, 0x10001
	s_mov_b32 s5, 0xfffeffff
	v_mov_b32_e32 v12, 0xfffeffff
	v_cmp_gt_u64_e32 vcc, s[4:5], v[10:11]
	v_mov_b32_e32 v13, 0x10001
	v_cndmask_b32_e32 v9, v12, v11, vcc
	v_cndmask_b32_e32 v8, v13, v10, vcc
	v_cmp_lt_u64_e32 vcc, s[4:5], v[10:11]
	v_cndmask_b32_e32 v10, v13, v10, vcc
	v_cndmask_b32_e32 v11, v12, v11, vcc
	v_add_co_u32_e32 v17, vcc, -1, v10
	v_not_b32_e32 v13, v11
	v_not_b32_e32 v12, v10
	v_addc_co_u32_e32 v18, vcc, 0, v11, vcc
	s_movk_i32 s12, 0xffc0
	s_mov_b64 s[4:5], 60
	v_pk_mov_b32 v[14:15], 0, 0
	s_branch .LBB0_128
.LBB0_126:                              ;   in Loop: Header=BB0_128 Depth=1
	s_or_b64 exec, exec, s[10:11]
.LBB0_127:                              ;   in Loop: Header=BB0_128 Depth=1
	s_or_b64 exec, exec, s[8:9]
	v_add_co_u32_e32 v19, vcc, -1, v14
	s_add_i32 s12, s12, 4
	v_addc_co_u32_e32 v22, vcc, 0, v15, vcc
	s_add_u32 s4, s4, -4
	v_cmp_gt_u64_e32 vcc, s[0:1], v[14:15]
	s_addc_u32 s5, s5, -1
	v_cndmask_b32_e32 v15, v22, v15, vcc
	s_cmp_lg_u32 s12, 0
	v_cndmask_b32_e32 v14, v19, v14, vcc
	s_cbranch_scc0 .LBB0_151
.LBB0_128:                              ; =>This Inner Loop Header: Depth=1
	v_lshlrev_b64 v[24:25], 1, v[14:15]
	v_add_co_u32_e32 v19, vcc, -1, v24
	v_addc_co_u32_e32 v22, vcc, 0, v25, vcc
	v_cmp_gt_i64_e32 vcc, 0, v[14:15]
	s_add_i32 s8, s4, 3
	v_cndmask_b32_e32 v15, v25, v22, vcc
	v_cndmask_b32_e32 v14, v24, v19, vcc
	v_lshrrev_b64 v[24:25], s8, v[8:9]
	v_and_b32_e32 v19, 1, v24
	v_cmp_eq_u32_e32 vcc, 1, v19
	s_and_saveexec_b64 s[8:9], vcc
	s_cbranch_execz .LBB0_134
; %bb.129:                              ;   in Loop: Header=BB0_128 Depth=1
	v_cmp_le_u64_e32 vcc, v[14:15], v[12:13]
	s_and_saveexec_b64 s[10:11], vcc
	s_xor_b64 s[10:11], exec, s[10:11]
; %bb.130:                              ;   in Loop: Header=BB0_128 Depth=1
	v_add_co_u32_e32 v14, vcc, v14, v10
	v_addc_co_u32_e32 v15, vcc, v15, v11, vcc
; %bb.131:                              ;   in Loop: Header=BB0_128 Depth=1
	s_andn2_saveexec_b64 s[10:11], s[10:11]
; %bb.132:                              ;   in Loop: Header=BB0_128 Depth=1
	v_add_co_u32_e32 v14, vcc, v17, v14
	v_addc_co_u32_e32 v15, vcc, v18, v15, vcc
; %bb.133:                              ;   in Loop: Header=BB0_128 Depth=1
	s_or_b64 exec, exec, s[10:11]
.LBB0_134:                              ;   in Loop: Header=BB0_128 Depth=1
	s_or_b64 exec, exec, s[8:9]
	v_add_co_u32_e32 v19, vcc, -1, v14
	v_addc_co_u32_e32 v22, vcc, 0, v15, vcc
	v_cmp_gt_u64_e32 vcc, s[0:1], v[14:15]
	v_cndmask_b32_e32 v15, v22, v15, vcc
	v_cndmask_b32_e32 v14, v19, v14, vcc
	v_lshlrev_b64 v[24:25], 1, v[14:15]
	v_add_co_u32_e32 v19, vcc, -1, v24
	v_addc_co_u32_e32 v22, vcc, 0, v25, vcc
	v_cmp_gt_i64_e32 vcc, 0, v[14:15]
	s_add_i32 s8, s4, 2
	v_cndmask_b32_e32 v15, v25, v22, vcc
	v_cndmask_b32_e32 v14, v24, v19, vcc
	v_lshrrev_b64 v[24:25], s8, v[8:9]
	v_and_b32_e32 v19, 1, v24
	v_cmp_eq_u32_e32 vcc, 1, v19
	s_and_saveexec_b64 s[8:9], vcc
	s_cbranch_execz .LBB0_140
; %bb.135:                              ;   in Loop: Header=BB0_128 Depth=1
	v_cmp_le_u64_e32 vcc, v[14:15], v[12:13]
	s_and_saveexec_b64 s[10:11], vcc
	s_xor_b64 s[10:11], exec, s[10:11]
; %bb.136:                              ;   in Loop: Header=BB0_128 Depth=1
	v_add_co_u32_e32 v14, vcc, v14, v10
	v_addc_co_u32_e32 v15, vcc, v15, v11, vcc
; %bb.137:                              ;   in Loop: Header=BB0_128 Depth=1
	s_andn2_saveexec_b64 s[10:11], s[10:11]
; %bb.138:                              ;   in Loop: Header=BB0_128 Depth=1
	v_add_co_u32_e32 v14, vcc, v17, v14
	v_addc_co_u32_e32 v15, vcc, v18, v15, vcc
; %bb.139:                              ;   in Loop: Header=BB0_128 Depth=1
	s_or_b64 exec, exec, s[10:11]
.LBB0_140:                              ;   in Loop: Header=BB0_128 Depth=1
	s_or_b64 exec, exec, s[8:9]
	v_add_co_u32_e32 v19, vcc, -1, v14
	v_addc_co_u32_e32 v22, vcc, 0, v15, vcc
	v_cmp_gt_u64_e32 vcc, s[0:1], v[14:15]
	v_cndmask_b32_e32 v15, v22, v15, vcc
	v_cndmask_b32_e32 v14, v19, v14, vcc
	;; [unrolled: 33-line block ×3, first 2 shown]
	v_lshlrev_b64 v[24:25], 1, v[14:15]
	v_add_co_u32_e32 v19, vcc, -1, v24
	v_addc_co_u32_e32 v22, vcc, 0, v25, vcc
	v_cmp_gt_i64_e32 vcc, 0, v[14:15]
	v_cndmask_b32_e32 v15, v25, v22, vcc
	v_cndmask_b32_e32 v14, v24, v19, vcc
	v_lshrrev_b64 v[24:25], s4, v[8:9]
	v_and_b32_e32 v19, 1, v24
	v_cmp_eq_u32_e32 vcc, 1, v19
	s_and_saveexec_b64 s[8:9], vcc
	s_cbranch_execz .LBB0_127
; %bb.147:                              ;   in Loop: Header=BB0_128 Depth=1
	v_cmp_le_u64_e32 vcc, v[14:15], v[12:13]
	s_and_saveexec_b64 s[10:11], vcc
	s_xor_b64 s[10:11], exec, s[10:11]
; %bb.148:                              ;   in Loop: Header=BB0_128 Depth=1
	v_add_co_u32_e32 v14, vcc, v14, v10
	v_addc_co_u32_e32 v15, vcc, v15, v11, vcc
; %bb.149:                              ;   in Loop: Header=BB0_128 Depth=1
	s_andn2_saveexec_b64 s[10:11], s[10:11]
	s_cbranch_execz .LBB0_126
; %bb.150:                              ;   in Loop: Header=BB0_128 Depth=1
	v_add_co_u32_e32 v14, vcc, v17, v14
	v_addc_co_u32_e32 v15, vcc, v18, v15, vcc
	s_branch .LBB0_126
.LBB0_151:
	s_or_b64 exec, exec, s[2:3]
	s_waitcnt lgkmcnt(1)
	v_add_co_u32_e32 v8, vcc, v6, v4
	v_addc_co_u32_e32 v9, vcc, v7, v5, vcc
	v_add_co_u32_e32 v10, vcc, -1, v8
	v_addc_co_u32_e32 v11, vcc, 0, v9, vcc
	v_cmp_lt_u64_e32 vcc, v[8:9], v[6:7]
	v_cndmask_b32_e32 v8, v8, v10, vcc
	v_cndmask_b32_e32 v9, v9, v11, vcc
	v_add_co_u32_e32 v10, vcc, -1, v8
	s_mov_b32 s1, -1
	s_mov_b32 s0, 0
	v_addc_co_u32_e32 v11, vcc, 0, v9, vcc
	v_cmp_lt_u64_e32 vcc, s[0:1], v[8:9]
	v_cndmask_b32_e32 v8, v8, v10, vcc
	v_lshlrev_b32_e32 v10, 2, v16
	s_mov_b32 s2, 0x20000
	v_or3_b32 v10, v21, v10, s2
	v_cndmask_b32_e32 v9, v9, v11, vcc
	global_store_dword v10, v14, s[6:7]
	v_add_co_u32_e32 v10, vcc, -1, v8
	v_addc_co_u32_e32 v11, vcc, 0, v9, vcc
	v_cmp_lt_u64_e32 vcc, s[0:1], v[8:9]
	v_cndmask_b32_e32 v11, v9, v11, vcc
	v_cndmask_b32_e32 v10, v8, v10, vcc
	v_cmp_ne_u64_e32 vcc, 0, v[10:11]
	v_mov_b32_e32 v14, 0
	s_and_saveexec_b64 s[2:3], vcc
	s_cbranch_execz .LBB0_178
; %bb.152:
	s_mov_b32 s4, 0x10001
	s_mov_b32 s5, 0xfffeffff
	v_mov_b32_e32 v12, 0xfffeffff
	v_cmp_gt_u64_e32 vcc, s[4:5], v[10:11]
	v_mov_b32_e32 v13, 0x10001
	v_cndmask_b32_e32 v9, v12, v11, vcc
	v_cndmask_b32_e32 v8, v13, v10, vcc
	v_cmp_lt_u64_e32 vcc, s[4:5], v[10:11]
	v_cndmask_b32_e32 v10, v13, v10, vcc
	v_cndmask_b32_e32 v11, v12, v11, vcc
	v_add_co_u32_e32 v16, vcc, -1, v10
	v_not_b32_e32 v13, v11
	v_not_b32_e32 v12, v10
	v_addc_co_u32_e32 v17, vcc, 0, v11, vcc
	s_movk_i32 s12, 0xffc0
	s_mov_b64 s[4:5], 60
	v_pk_mov_b32 v[14:15], 0, 0
	s_mov_b32 s0, 1
	s_branch .LBB0_155
.LBB0_153:                              ;   in Loop: Header=BB0_155 Depth=1
	s_or_b64 exec, exec, s[10:11]
.LBB0_154:                              ;   in Loop: Header=BB0_155 Depth=1
	s_or_b64 exec, exec, s[8:9]
	v_add_co_u32_e32 v18, vcc, -1, v14
	s_add_i32 s12, s12, 4
	v_addc_co_u32_e32 v19, vcc, 0, v15, vcc
	s_add_u32 s4, s4, -4
	v_cmp_gt_u64_e32 vcc, s[0:1], v[14:15]
	s_addc_u32 s5, s5, -1
	v_cndmask_b32_e32 v15, v19, v15, vcc
	s_cmp_lg_u32 s12, 0
	v_cndmask_b32_e32 v14, v18, v14, vcc
	s_cbranch_scc0 .LBB0_178
.LBB0_155:                              ; =>This Inner Loop Header: Depth=1
	v_lshlrev_b64 v[18:19], 1, v[14:15]
	v_add_co_u32_e32 v22, vcc, -1, v18
	v_addc_co_u32_e32 v24, vcc, 0, v19, vcc
	v_cmp_gt_i64_e32 vcc, 0, v[14:15]
	s_add_i32 s8, s4, 3
	v_cndmask_b32_e32 v15, v19, v24, vcc
	v_cndmask_b32_e32 v14, v18, v22, vcc
	v_lshrrev_b64 v[18:19], s8, v[8:9]
	v_and_b32_e32 v18, 1, v18
	v_cmp_eq_u32_e32 vcc, 1, v18
	s_and_saveexec_b64 s[8:9], vcc
	s_cbranch_execz .LBB0_161
; %bb.156:                              ;   in Loop: Header=BB0_155 Depth=1
	v_cmp_le_u64_e32 vcc, v[14:15], v[12:13]
	s_and_saveexec_b64 s[10:11], vcc
	s_xor_b64 s[10:11], exec, s[10:11]
; %bb.157:                              ;   in Loop: Header=BB0_155 Depth=1
	v_add_co_u32_e32 v14, vcc, v14, v10
	v_addc_co_u32_e32 v15, vcc, v15, v11, vcc
; %bb.158:                              ;   in Loop: Header=BB0_155 Depth=1
	s_andn2_saveexec_b64 s[10:11], s[10:11]
; %bb.159:                              ;   in Loop: Header=BB0_155 Depth=1
	v_add_co_u32_e32 v14, vcc, v16, v14
	v_addc_co_u32_e32 v15, vcc, v17, v15, vcc
; %bb.160:                              ;   in Loop: Header=BB0_155 Depth=1
	s_or_b64 exec, exec, s[10:11]
.LBB0_161:                              ;   in Loop: Header=BB0_155 Depth=1
	s_or_b64 exec, exec, s[8:9]
	v_add_co_u32_e32 v18, vcc, -1, v14
	v_addc_co_u32_e32 v19, vcc, 0, v15, vcc
	v_cmp_gt_u64_e32 vcc, s[0:1], v[14:15]
	v_cndmask_b32_e32 v15, v19, v15, vcc
	v_cndmask_b32_e32 v14, v18, v14, vcc
	v_lshlrev_b64 v[18:19], 1, v[14:15]
	v_add_co_u32_e32 v22, vcc, -1, v18
	v_addc_co_u32_e32 v24, vcc, 0, v19, vcc
	v_cmp_gt_i64_e32 vcc, 0, v[14:15]
	s_add_i32 s8, s4, 2
	v_cndmask_b32_e32 v15, v19, v24, vcc
	v_cndmask_b32_e32 v14, v18, v22, vcc
	v_lshrrev_b64 v[18:19], s8, v[8:9]
	v_and_b32_e32 v18, 1, v18
	v_cmp_eq_u32_e32 vcc, 1, v18
	s_and_saveexec_b64 s[8:9], vcc
	s_cbranch_execz .LBB0_167
; %bb.162:                              ;   in Loop: Header=BB0_155 Depth=1
	v_cmp_le_u64_e32 vcc, v[14:15], v[12:13]
	s_and_saveexec_b64 s[10:11], vcc
	s_xor_b64 s[10:11], exec, s[10:11]
; %bb.163:                              ;   in Loop: Header=BB0_155 Depth=1
	v_add_co_u32_e32 v14, vcc, v14, v10
	v_addc_co_u32_e32 v15, vcc, v15, v11, vcc
; %bb.164:                              ;   in Loop: Header=BB0_155 Depth=1
	s_andn2_saveexec_b64 s[10:11], s[10:11]
; %bb.165:                              ;   in Loop: Header=BB0_155 Depth=1
	v_add_co_u32_e32 v14, vcc, v16, v14
	v_addc_co_u32_e32 v15, vcc, v17, v15, vcc
; %bb.166:                              ;   in Loop: Header=BB0_155 Depth=1
	s_or_b64 exec, exec, s[10:11]
.LBB0_167:                              ;   in Loop: Header=BB0_155 Depth=1
	s_or_b64 exec, exec, s[8:9]
	v_add_co_u32_e32 v18, vcc, -1, v14
	v_addc_co_u32_e32 v19, vcc, 0, v15, vcc
	v_cmp_gt_u64_e32 vcc, s[0:1], v[14:15]
	v_cndmask_b32_e32 v15, v19, v15, vcc
	v_cndmask_b32_e32 v14, v18, v14, vcc
	;; [unrolled: 33-line block ×3, first 2 shown]
	v_lshlrev_b64 v[18:19], 1, v[14:15]
	v_add_co_u32_e32 v22, vcc, -1, v18
	v_addc_co_u32_e32 v24, vcc, 0, v19, vcc
	v_cmp_gt_i64_e32 vcc, 0, v[14:15]
	v_cndmask_b32_e32 v15, v19, v24, vcc
	v_cndmask_b32_e32 v14, v18, v22, vcc
	v_lshrrev_b64 v[18:19], s4, v[8:9]
	v_and_b32_e32 v18, 1, v18
	v_cmp_eq_u32_e32 vcc, 1, v18
	s_and_saveexec_b64 s[8:9], vcc
	s_cbranch_execz .LBB0_154
; %bb.174:                              ;   in Loop: Header=BB0_155 Depth=1
	v_cmp_le_u64_e32 vcc, v[14:15], v[12:13]
	s_and_saveexec_b64 s[10:11], vcc
	s_xor_b64 s[10:11], exec, s[10:11]
; %bb.175:                              ;   in Loop: Header=BB0_155 Depth=1
	v_add_co_u32_e32 v14, vcc, v14, v10
	v_addc_co_u32_e32 v15, vcc, v15, v11, vcc
; %bb.176:                              ;   in Loop: Header=BB0_155 Depth=1
	s_andn2_saveexec_b64 s[10:11], s[10:11]
	s_cbranch_execz .LBB0_153
; %bb.177:                              ;   in Loop: Header=BB0_155 Depth=1
	v_add_co_u32_e32 v14, vcc, v16, v14
	v_addc_co_u32_e32 v15, vcc, v17, v15, vcc
	s_branch .LBB0_153
.LBB0_178:
	s_or_b64 exec, exec, s[2:3]
	v_sub_co_u32_e32 v8, vcc, v4, v6
	v_subb_co_u32_e32 v9, vcc, v5, v7, vcc
	v_add_co_u32_e32 v10, vcc, 1, v8
	v_addc_co_u32_e32 v11, vcc, -1, v9, vcc
	v_or_b32_e32 v12, 2, v23
	v_cmp_lt_u64_e32 vcc, v[4:5], v[6:7]
	v_or_b32_e32 v6, v20, v12
	s_mov_b32 s0, 1
	v_cndmask_b32_e32 v4, v8, v10, vcc
	v_lshlrev_b32_e32 v6, 2, v6
	s_mov_b32 s1, -1
	v_cndmask_b32_e32 v5, v9, v11, vcc
	global_store_dword v6, v14, s[6:7]
	v_add_co_u32_e32 v6, vcc, -1, v4
	s_mov_b32 s2, 0
	s_mov_b32 s3, s1
	v_addc_co_u32_e32 v7, vcc, 0, v5, vcc
	v_cmp_lt_u64_e32 vcc, s[2:3], v[4:5]
	v_cndmask_b32_e32 v7, v5, v7, vcc
	v_cndmask_b32_e32 v6, v4, v6, vcc
	v_cmp_ne_u64_e32 vcc, 0, v[6:7]
	v_mov_b32_e32 v10, 0
	s_and_saveexec_b64 s[2:3], vcc
	s_cbranch_execz .LBB0_205
; %bb.179:
	s_mov_b32 s4, 0x10001
	s_mov_b32 s5, 0xfffeffff
	v_mov_b32_e32 v8, 0xfffeffff
	v_cmp_gt_u64_e32 vcc, s[4:5], v[6:7]
	v_mov_b32_e32 v9, 0x10001
	v_cndmask_b32_e32 v5, v8, v7, vcc
	v_cndmask_b32_e32 v4, v9, v6, vcc
	v_cmp_lt_u64_e32 vcc, s[4:5], v[6:7]
	v_cndmask_b32_e32 v6, v9, v6, vcc
	v_cndmask_b32_e32 v7, v8, v7, vcc
	v_add_co_u32_e32 v13, vcc, -1, v6
	v_not_b32_e32 v9, v7
	v_not_b32_e32 v8, v6
	v_addc_co_u32_e32 v14, vcc, 0, v7, vcc
	s_movk_i32 s12, 0xffc0
	s_mov_b64 s[4:5], 60
	v_pk_mov_b32 v[10:11], 0, 0
	s_branch .LBB0_182
.LBB0_180:                              ;   in Loop: Header=BB0_182 Depth=1
	s_or_b64 exec, exec, s[10:11]
.LBB0_181:                              ;   in Loop: Header=BB0_182 Depth=1
	s_or_b64 exec, exec, s[8:9]
	v_add_co_u32_e32 v15, vcc, -1, v10
	s_add_i32 s12, s12, 4
	v_addc_co_u32_e32 v16, vcc, 0, v11, vcc
	s_add_u32 s4, s4, -4
	v_cmp_gt_u64_e32 vcc, s[0:1], v[10:11]
	s_addc_u32 s5, s5, -1
	v_cndmask_b32_e32 v11, v16, v11, vcc
	s_cmp_lg_u32 s12, 0
	v_cndmask_b32_e32 v10, v15, v10, vcc
	s_cbranch_scc0 .LBB0_205
.LBB0_182:                              ; =>This Inner Loop Header: Depth=1
	v_lshlrev_b64 v[16:17], 1, v[10:11]
	v_add_co_u32_e32 v15, vcc, -1, v16
	v_addc_co_u32_e32 v18, vcc, 0, v17, vcc
	v_cmp_gt_i64_e32 vcc, 0, v[10:11]
	s_add_i32 s8, s4, 3
	v_cndmask_b32_e32 v11, v17, v18, vcc
	v_cndmask_b32_e32 v10, v16, v15, vcc
	v_lshrrev_b64 v[16:17], s8, v[4:5]
	v_and_b32_e32 v15, 1, v16
	v_cmp_eq_u32_e32 vcc, 1, v15
	s_and_saveexec_b64 s[8:9], vcc
	s_cbranch_execz .LBB0_188
; %bb.183:                              ;   in Loop: Header=BB0_182 Depth=1
	v_cmp_le_u64_e32 vcc, v[10:11], v[8:9]
	s_and_saveexec_b64 s[10:11], vcc
	s_xor_b64 s[10:11], exec, s[10:11]
; %bb.184:                              ;   in Loop: Header=BB0_182 Depth=1
	v_add_co_u32_e32 v10, vcc, v10, v6
	v_addc_co_u32_e32 v11, vcc, v11, v7, vcc
; %bb.185:                              ;   in Loop: Header=BB0_182 Depth=1
	s_andn2_saveexec_b64 s[10:11], s[10:11]
; %bb.186:                              ;   in Loop: Header=BB0_182 Depth=1
	v_add_co_u32_e32 v10, vcc, v13, v10
	v_addc_co_u32_e32 v11, vcc, v14, v11, vcc
; %bb.187:                              ;   in Loop: Header=BB0_182 Depth=1
	s_or_b64 exec, exec, s[10:11]
.LBB0_188:                              ;   in Loop: Header=BB0_182 Depth=1
	s_or_b64 exec, exec, s[8:9]
	v_add_co_u32_e32 v15, vcc, -1, v10
	v_addc_co_u32_e32 v16, vcc, 0, v11, vcc
	v_cmp_gt_u64_e32 vcc, s[0:1], v[10:11]
	v_cndmask_b32_e32 v11, v16, v11, vcc
	v_cndmask_b32_e32 v10, v15, v10, vcc
	v_lshlrev_b64 v[16:17], 1, v[10:11]
	v_add_co_u32_e32 v15, vcc, -1, v16
	v_addc_co_u32_e32 v18, vcc, 0, v17, vcc
	v_cmp_gt_i64_e32 vcc, 0, v[10:11]
	s_add_i32 s8, s4, 2
	v_cndmask_b32_e32 v11, v17, v18, vcc
	v_cndmask_b32_e32 v10, v16, v15, vcc
	v_lshrrev_b64 v[16:17], s8, v[4:5]
	v_and_b32_e32 v15, 1, v16
	v_cmp_eq_u32_e32 vcc, 1, v15
	s_and_saveexec_b64 s[8:9], vcc
	s_cbranch_execz .LBB0_194
; %bb.189:                              ;   in Loop: Header=BB0_182 Depth=1
	v_cmp_le_u64_e32 vcc, v[10:11], v[8:9]
	s_and_saveexec_b64 s[10:11], vcc
	s_xor_b64 s[10:11], exec, s[10:11]
; %bb.190:                              ;   in Loop: Header=BB0_182 Depth=1
	v_add_co_u32_e32 v10, vcc, v10, v6
	v_addc_co_u32_e32 v11, vcc, v11, v7, vcc
; %bb.191:                              ;   in Loop: Header=BB0_182 Depth=1
	s_andn2_saveexec_b64 s[10:11], s[10:11]
; %bb.192:                              ;   in Loop: Header=BB0_182 Depth=1
	v_add_co_u32_e32 v10, vcc, v13, v10
	v_addc_co_u32_e32 v11, vcc, v14, v11, vcc
; %bb.193:                              ;   in Loop: Header=BB0_182 Depth=1
	s_or_b64 exec, exec, s[10:11]
.LBB0_194:                              ;   in Loop: Header=BB0_182 Depth=1
	s_or_b64 exec, exec, s[8:9]
	v_add_co_u32_e32 v15, vcc, -1, v10
	v_addc_co_u32_e32 v16, vcc, 0, v11, vcc
	v_cmp_gt_u64_e32 vcc, s[0:1], v[10:11]
	v_cndmask_b32_e32 v11, v16, v11, vcc
	v_cndmask_b32_e32 v10, v15, v10, vcc
	;; [unrolled: 33-line block ×3, first 2 shown]
	v_lshlrev_b64 v[16:17], 1, v[10:11]
	v_add_co_u32_e32 v15, vcc, -1, v16
	v_addc_co_u32_e32 v18, vcc, 0, v17, vcc
	v_cmp_gt_i64_e32 vcc, 0, v[10:11]
	v_cndmask_b32_e32 v11, v17, v18, vcc
	v_cndmask_b32_e32 v10, v16, v15, vcc
	v_lshrrev_b64 v[16:17], s4, v[4:5]
	v_and_b32_e32 v15, 1, v16
	v_cmp_eq_u32_e32 vcc, 1, v15
	s_and_saveexec_b64 s[8:9], vcc
	s_cbranch_execz .LBB0_181
; %bb.201:                              ;   in Loop: Header=BB0_182 Depth=1
	v_cmp_le_u64_e32 vcc, v[10:11], v[8:9]
	s_and_saveexec_b64 s[10:11], vcc
	s_xor_b64 s[10:11], exec, s[10:11]
; %bb.202:                              ;   in Loop: Header=BB0_182 Depth=1
	v_add_co_u32_e32 v10, vcc, v10, v6
	v_addc_co_u32_e32 v11, vcc, v11, v7, vcc
; %bb.203:                              ;   in Loop: Header=BB0_182 Depth=1
	s_andn2_saveexec_b64 s[10:11], s[10:11]
	s_cbranch_execz .LBB0_180
; %bb.204:                              ;   in Loop: Header=BB0_182 Depth=1
	v_add_co_u32_e32 v10, vcc, v13, v10
	v_addc_co_u32_e32 v11, vcc, v14, v11, vcc
	s_branch .LBB0_180
.LBB0_205:
	s_or_b64 exec, exec, s[2:3]
	s_waitcnt lgkmcnt(0)
	v_add_co_u32_e32 v4, vcc, v2, v0
	v_addc_co_u32_e32 v5, vcc, v3, v1, vcc
	v_add_co_u32_e32 v6, vcc, -1, v4
	v_addc_co_u32_e32 v7, vcc, 0, v5, vcc
	v_cmp_lt_u64_e32 vcc, v[4:5], v[2:3]
	v_cndmask_b32_e32 v4, v4, v6, vcc
	v_cndmask_b32_e32 v5, v5, v7, vcc
	v_add_co_u32_e32 v6, vcc, -1, v4
	s_mov_b32 s1, -1
	s_mov_b32 s0, 0
	v_addc_co_u32_e32 v7, vcc, 0, v5, vcc
	v_cmp_lt_u64_e32 vcc, s[0:1], v[4:5]
	v_cndmask_b32_e32 v4, v4, v6, vcc
	v_lshlrev_b32_e32 v6, 2, v12
	s_mov_b32 s2, 0x20000
	v_or3_b32 v6, v21, v6, s2
	v_cndmask_b32_e32 v5, v5, v7, vcc
	global_store_dword v6, v10, s[6:7]
	v_add_co_u32_e32 v6, vcc, -1, v4
	v_addc_co_u32_e32 v7, vcc, 0, v5, vcc
	v_cmp_lt_u64_e32 vcc, s[0:1], v[4:5]
	v_cndmask_b32_e32 v7, v5, v7, vcc
	v_cndmask_b32_e32 v6, v4, v6, vcc
	v_cmp_ne_u64_e32 vcc, 0, v[6:7]
	v_mov_b32_e32 v10, 0
	s_and_saveexec_b64 s[2:3], vcc
	s_cbranch_execz .LBB0_232
; %bb.206:
	s_mov_b32 s4, 0x10001
	s_mov_b32 s5, 0xfffeffff
	v_mov_b32_e32 v8, 0xfffeffff
	v_cmp_gt_u64_e32 vcc, s[4:5], v[6:7]
	v_mov_b32_e32 v9, 0x10001
	v_cndmask_b32_e32 v5, v8, v7, vcc
	v_cndmask_b32_e32 v4, v9, v6, vcc
	v_cmp_lt_u64_e32 vcc, s[4:5], v[6:7]
	v_cndmask_b32_e32 v6, v9, v6, vcc
	v_cndmask_b32_e32 v7, v8, v7, vcc
	v_add_co_u32_e32 v12, vcc, -1, v6
	v_not_b32_e32 v9, v7
	v_not_b32_e32 v8, v6
	v_addc_co_u32_e32 v13, vcc, 0, v7, vcc
	s_movk_i32 s12, 0xffc0
	s_mov_b64 s[4:5], 60
	v_pk_mov_b32 v[10:11], 0, 0
	s_mov_b32 s0, 1
	s_branch .LBB0_209
.LBB0_207:                              ;   in Loop: Header=BB0_209 Depth=1
	s_or_b64 exec, exec, s[10:11]
.LBB0_208:                              ;   in Loop: Header=BB0_209 Depth=1
	s_or_b64 exec, exec, s[8:9]
	v_add_co_u32_e32 v14, vcc, -1, v10
	s_add_i32 s12, s12, 4
	v_addc_co_u32_e32 v15, vcc, 0, v11, vcc
	s_add_u32 s4, s4, -4
	v_cmp_gt_u64_e32 vcc, s[0:1], v[10:11]
	s_addc_u32 s5, s5, -1
	v_cndmask_b32_e32 v11, v15, v11, vcc
	s_cmp_lg_u32 s12, 0
	v_cndmask_b32_e32 v10, v14, v10, vcc
	s_cbranch_scc0 .LBB0_232
.LBB0_209:                              ; =>This Inner Loop Header: Depth=1
	v_lshlrev_b64 v[14:15], 1, v[10:11]
	v_add_co_u32_e32 v16, vcc, -1, v14
	v_addc_co_u32_e32 v17, vcc, 0, v15, vcc
	v_cmp_gt_i64_e32 vcc, 0, v[10:11]
	s_add_i32 s8, s4, 3
	v_cndmask_b32_e32 v11, v15, v17, vcc
	v_cndmask_b32_e32 v10, v14, v16, vcc
	v_lshrrev_b64 v[14:15], s8, v[4:5]
	v_and_b32_e32 v14, 1, v14
	v_cmp_eq_u32_e32 vcc, 1, v14
	s_and_saveexec_b64 s[8:9], vcc
	s_cbranch_execz .LBB0_215
; %bb.210:                              ;   in Loop: Header=BB0_209 Depth=1
	v_cmp_le_u64_e32 vcc, v[10:11], v[8:9]
	s_and_saveexec_b64 s[10:11], vcc
	s_xor_b64 s[10:11], exec, s[10:11]
; %bb.211:                              ;   in Loop: Header=BB0_209 Depth=1
	v_add_co_u32_e32 v10, vcc, v10, v6
	v_addc_co_u32_e32 v11, vcc, v11, v7, vcc
; %bb.212:                              ;   in Loop: Header=BB0_209 Depth=1
	s_andn2_saveexec_b64 s[10:11], s[10:11]
; %bb.213:                              ;   in Loop: Header=BB0_209 Depth=1
	v_add_co_u32_e32 v10, vcc, v12, v10
	v_addc_co_u32_e32 v11, vcc, v13, v11, vcc
; %bb.214:                              ;   in Loop: Header=BB0_209 Depth=1
	s_or_b64 exec, exec, s[10:11]
.LBB0_215:                              ;   in Loop: Header=BB0_209 Depth=1
	s_or_b64 exec, exec, s[8:9]
	v_add_co_u32_e32 v14, vcc, -1, v10
	v_addc_co_u32_e32 v15, vcc, 0, v11, vcc
	v_cmp_gt_u64_e32 vcc, s[0:1], v[10:11]
	v_cndmask_b32_e32 v11, v15, v11, vcc
	v_cndmask_b32_e32 v10, v14, v10, vcc
	v_lshlrev_b64 v[14:15], 1, v[10:11]
	v_add_co_u32_e32 v16, vcc, -1, v14
	v_addc_co_u32_e32 v17, vcc, 0, v15, vcc
	v_cmp_gt_i64_e32 vcc, 0, v[10:11]
	s_add_i32 s8, s4, 2
	v_cndmask_b32_e32 v11, v15, v17, vcc
	v_cndmask_b32_e32 v10, v14, v16, vcc
	v_lshrrev_b64 v[14:15], s8, v[4:5]
	v_and_b32_e32 v14, 1, v14
	v_cmp_eq_u32_e32 vcc, 1, v14
	s_and_saveexec_b64 s[8:9], vcc
	s_cbranch_execz .LBB0_221
; %bb.216:                              ;   in Loop: Header=BB0_209 Depth=1
	v_cmp_le_u64_e32 vcc, v[10:11], v[8:9]
	s_and_saveexec_b64 s[10:11], vcc
	s_xor_b64 s[10:11], exec, s[10:11]
; %bb.217:                              ;   in Loop: Header=BB0_209 Depth=1
	v_add_co_u32_e32 v10, vcc, v10, v6
	v_addc_co_u32_e32 v11, vcc, v11, v7, vcc
; %bb.218:                              ;   in Loop: Header=BB0_209 Depth=1
	s_andn2_saveexec_b64 s[10:11], s[10:11]
; %bb.219:                              ;   in Loop: Header=BB0_209 Depth=1
	v_add_co_u32_e32 v10, vcc, v12, v10
	v_addc_co_u32_e32 v11, vcc, v13, v11, vcc
; %bb.220:                              ;   in Loop: Header=BB0_209 Depth=1
	s_or_b64 exec, exec, s[10:11]
.LBB0_221:                              ;   in Loop: Header=BB0_209 Depth=1
	s_or_b64 exec, exec, s[8:9]
	v_add_co_u32_e32 v14, vcc, -1, v10
	v_addc_co_u32_e32 v15, vcc, 0, v11, vcc
	v_cmp_gt_u64_e32 vcc, s[0:1], v[10:11]
	v_cndmask_b32_e32 v11, v15, v11, vcc
	v_cndmask_b32_e32 v10, v14, v10, vcc
	;; [unrolled: 33-line block ×3, first 2 shown]
	v_lshlrev_b64 v[14:15], 1, v[10:11]
	v_add_co_u32_e32 v16, vcc, -1, v14
	v_addc_co_u32_e32 v17, vcc, 0, v15, vcc
	v_cmp_gt_i64_e32 vcc, 0, v[10:11]
	v_cndmask_b32_e32 v11, v15, v17, vcc
	v_cndmask_b32_e32 v10, v14, v16, vcc
	v_lshrrev_b64 v[14:15], s4, v[4:5]
	v_and_b32_e32 v14, 1, v14
	v_cmp_eq_u32_e32 vcc, 1, v14
	s_and_saveexec_b64 s[8:9], vcc
	s_cbranch_execz .LBB0_208
; %bb.228:                              ;   in Loop: Header=BB0_209 Depth=1
	v_cmp_le_u64_e32 vcc, v[10:11], v[8:9]
	s_and_saveexec_b64 s[10:11], vcc
	s_xor_b64 s[10:11], exec, s[10:11]
; %bb.229:                              ;   in Loop: Header=BB0_209 Depth=1
	v_add_co_u32_e32 v10, vcc, v10, v6
	v_addc_co_u32_e32 v11, vcc, v11, v7, vcc
; %bb.230:                              ;   in Loop: Header=BB0_209 Depth=1
	s_andn2_saveexec_b64 s[10:11], s[10:11]
	s_cbranch_execz .LBB0_207
; %bb.231:                              ;   in Loop: Header=BB0_209 Depth=1
	v_add_co_u32_e32 v10, vcc, v12, v10
	v_addc_co_u32_e32 v11, vcc, v13, v11, vcc
	s_branch .LBB0_207
.LBB0_232:
	s_or_b64 exec, exec, s[2:3]
	v_sub_co_u32_e32 v4, vcc, v0, v2
	v_subb_co_u32_e32 v5, vcc, v1, v3, vcc
	v_add_co_u32_e32 v6, vcc, 1, v4
	v_addc_co_u32_e32 v7, vcc, -1, v5, vcc
	v_or_b32_e32 v8, 3, v23
	v_cmp_lt_u64_e32 vcc, v[0:1], v[2:3]
	v_or_b32_e32 v2, v20, v8
	s_mov_b32 s0, 1
	v_cndmask_b32_e32 v0, v4, v6, vcc
	v_lshlrev_b32_e32 v2, 2, v2
	s_mov_b32 s1, -1
	v_cndmask_b32_e32 v1, v5, v7, vcc
	global_store_dword v2, v10, s[6:7]
	v_add_co_u32_e32 v2, vcc, -1, v0
	s_mov_b32 s2, 0
	s_mov_b32 s3, s1
	v_addc_co_u32_e32 v3, vcc, 0, v1, vcc
	v_cmp_lt_u64_e32 vcc, s[2:3], v[0:1]
	v_cndmask_b32_e32 v3, v1, v3, vcc
	v_cndmask_b32_e32 v2, v0, v2, vcc
	v_cmp_ne_u64_e32 vcc, 0, v[2:3]
	v_mov_b32_e32 v6, 0
	s_and_saveexec_b64 s[2:3], vcc
	s_cbranch_execz .LBB0_259
; %bb.233:
	s_mov_b32 s4, 0x10001
	s_mov_b32 s5, 0xfffeffff
	v_mov_b32_e32 v4, 0xfffeffff
	v_cmp_gt_u64_e32 vcc, s[4:5], v[2:3]
	v_mov_b32_e32 v5, 0x10001
	v_cndmask_b32_e32 v1, v4, v3, vcc
	v_cndmask_b32_e32 v0, v5, v2, vcc
	v_cmp_lt_u64_e32 vcc, s[4:5], v[2:3]
	v_cndmask_b32_e32 v2, v5, v2, vcc
	v_cndmask_b32_e32 v3, v4, v3, vcc
	v_add_co_u32_e32 v9, vcc, -1, v2
	v_not_b32_e32 v5, v3
	v_not_b32_e32 v4, v2
	v_addc_co_u32_e32 v10, vcc, 0, v3, vcc
	s_movk_i32 s12, 0xffc0
	s_mov_b64 s[4:5], 60
	v_pk_mov_b32 v[6:7], 0, 0
	s_branch .LBB0_236
.LBB0_234:                              ;   in Loop: Header=BB0_236 Depth=1
	s_or_b64 exec, exec, s[10:11]
.LBB0_235:                              ;   in Loop: Header=BB0_236 Depth=1
	s_or_b64 exec, exec, s[8:9]
	v_add_co_u32_e32 v11, vcc, -1, v6
	s_add_i32 s12, s12, 4
	v_addc_co_u32_e32 v12, vcc, 0, v7, vcc
	s_add_u32 s4, s4, -4
	v_cmp_gt_u64_e32 vcc, s[0:1], v[6:7]
	s_addc_u32 s5, s5, -1
	v_cndmask_b32_e32 v7, v12, v7, vcc
	s_cmp_lg_u32 s12, 0
	v_cndmask_b32_e32 v6, v11, v6, vcc
	s_cbranch_scc0 .LBB0_259
.LBB0_236:                              ; =>This Inner Loop Header: Depth=1
	v_lshlrev_b64 v[12:13], 1, v[6:7]
	v_add_co_u32_e32 v11, vcc, -1, v12
	v_addc_co_u32_e32 v14, vcc, 0, v13, vcc
	v_cmp_gt_i64_e32 vcc, 0, v[6:7]
	s_add_i32 s8, s4, 3
	v_cndmask_b32_e32 v7, v13, v14, vcc
	v_cndmask_b32_e32 v6, v12, v11, vcc
	v_lshrrev_b64 v[12:13], s8, v[0:1]
	v_and_b32_e32 v11, 1, v12
	v_cmp_eq_u32_e32 vcc, 1, v11
	s_and_saveexec_b64 s[8:9], vcc
	s_cbranch_execz .LBB0_242
; %bb.237:                              ;   in Loop: Header=BB0_236 Depth=1
	v_cmp_le_u64_e32 vcc, v[6:7], v[4:5]
	s_and_saveexec_b64 s[10:11], vcc
	s_xor_b64 s[10:11], exec, s[10:11]
; %bb.238:                              ;   in Loop: Header=BB0_236 Depth=1
	v_add_co_u32_e32 v6, vcc, v6, v2
	v_addc_co_u32_e32 v7, vcc, v7, v3, vcc
; %bb.239:                              ;   in Loop: Header=BB0_236 Depth=1
	s_andn2_saveexec_b64 s[10:11], s[10:11]
; %bb.240:                              ;   in Loop: Header=BB0_236 Depth=1
	v_add_co_u32_e32 v6, vcc, v9, v6
	v_addc_co_u32_e32 v7, vcc, v10, v7, vcc
; %bb.241:                              ;   in Loop: Header=BB0_236 Depth=1
	s_or_b64 exec, exec, s[10:11]
.LBB0_242:                              ;   in Loop: Header=BB0_236 Depth=1
	s_or_b64 exec, exec, s[8:9]
	v_add_co_u32_e32 v11, vcc, -1, v6
	v_addc_co_u32_e32 v12, vcc, 0, v7, vcc
	v_cmp_gt_u64_e32 vcc, s[0:1], v[6:7]
	v_cndmask_b32_e32 v7, v12, v7, vcc
	v_cndmask_b32_e32 v6, v11, v6, vcc
	v_lshlrev_b64 v[12:13], 1, v[6:7]
	v_add_co_u32_e32 v11, vcc, -1, v12
	v_addc_co_u32_e32 v14, vcc, 0, v13, vcc
	v_cmp_gt_i64_e32 vcc, 0, v[6:7]
	s_add_i32 s8, s4, 2
	v_cndmask_b32_e32 v7, v13, v14, vcc
	v_cndmask_b32_e32 v6, v12, v11, vcc
	v_lshrrev_b64 v[12:13], s8, v[0:1]
	v_and_b32_e32 v11, 1, v12
	v_cmp_eq_u32_e32 vcc, 1, v11
	s_and_saveexec_b64 s[8:9], vcc
	s_cbranch_execz .LBB0_248
; %bb.243:                              ;   in Loop: Header=BB0_236 Depth=1
	v_cmp_le_u64_e32 vcc, v[6:7], v[4:5]
	s_and_saveexec_b64 s[10:11], vcc
	s_xor_b64 s[10:11], exec, s[10:11]
; %bb.244:                              ;   in Loop: Header=BB0_236 Depth=1
	v_add_co_u32_e32 v6, vcc, v6, v2
	v_addc_co_u32_e32 v7, vcc, v7, v3, vcc
; %bb.245:                              ;   in Loop: Header=BB0_236 Depth=1
	s_andn2_saveexec_b64 s[10:11], s[10:11]
; %bb.246:                              ;   in Loop: Header=BB0_236 Depth=1
	v_add_co_u32_e32 v6, vcc, v9, v6
	v_addc_co_u32_e32 v7, vcc, v10, v7, vcc
; %bb.247:                              ;   in Loop: Header=BB0_236 Depth=1
	s_or_b64 exec, exec, s[10:11]
.LBB0_248:                              ;   in Loop: Header=BB0_236 Depth=1
	s_or_b64 exec, exec, s[8:9]
	v_add_co_u32_e32 v11, vcc, -1, v6
	v_addc_co_u32_e32 v12, vcc, 0, v7, vcc
	v_cmp_gt_u64_e32 vcc, s[0:1], v[6:7]
	v_cndmask_b32_e32 v7, v12, v7, vcc
	v_cndmask_b32_e32 v6, v11, v6, vcc
	;; [unrolled: 33-line block ×3, first 2 shown]
	v_lshlrev_b64 v[12:13], 1, v[6:7]
	v_add_co_u32_e32 v11, vcc, -1, v12
	v_addc_co_u32_e32 v14, vcc, 0, v13, vcc
	v_cmp_gt_i64_e32 vcc, 0, v[6:7]
	v_cndmask_b32_e32 v7, v13, v14, vcc
	v_cndmask_b32_e32 v6, v12, v11, vcc
	v_lshrrev_b64 v[12:13], s4, v[0:1]
	v_and_b32_e32 v11, 1, v12
	v_cmp_eq_u32_e32 vcc, 1, v11
	s_and_saveexec_b64 s[8:9], vcc
	s_cbranch_execz .LBB0_235
; %bb.255:                              ;   in Loop: Header=BB0_236 Depth=1
	v_cmp_le_u64_e32 vcc, v[6:7], v[4:5]
	s_and_saveexec_b64 s[10:11], vcc
	s_xor_b64 s[10:11], exec, s[10:11]
; %bb.256:                              ;   in Loop: Header=BB0_236 Depth=1
	v_add_co_u32_e32 v6, vcc, v6, v2
	v_addc_co_u32_e32 v7, vcc, v7, v3, vcc
; %bb.257:                              ;   in Loop: Header=BB0_236 Depth=1
	s_andn2_saveexec_b64 s[10:11], s[10:11]
	s_cbranch_execz .LBB0_234
; %bb.258:                              ;   in Loop: Header=BB0_236 Depth=1
	v_add_co_u32_e32 v6, vcc, v9, v6
	v_addc_co_u32_e32 v7, vcc, v10, v7, vcc
	s_branch .LBB0_234
.LBB0_259:
	s_or_b64 exec, exec, s[2:3]
	v_lshlrev_b32_e32 v0, 2, v8
	s_mov_b32 s0, 0x20000
	v_or3_b32 v0, v21, v0, s0
	global_store_dword v0, v6, s[6:7]
	s_endpgm
.LBB0_260:
	v_cmp_lt_i32_e64 s[0:1], 35, v22
                                        ; implicit-def: $vgpr20_vgpr21
	s_and_saveexec_b64 s[2:3], s[0:1]
	s_xor_b64 s[10:11], exec, s[2:3]
	s_cbranch_execz .LBB0_264
; %bb.261:
	v_cmp_eq_u32_e64 s[0:1], 36, v22
	v_pk_mov_b32 v[20:21], v[18:19], v[18:19] op_sel:[0,1]
	s_and_saveexec_b64 s[12:13], s[0:1]
	s_cbranch_execz .LBB0_263
; %bb.262:
	v_alignbit_b32 v24, v19, v18, 28
	v_lshlrev_b32_e32 v20, 4, v18
	v_add_co_u32_e64 v20, s[0:1], v24, v20
	v_addc_co_u32_e64 v21, s[0:1], 0, 0, s[0:1]
	v_cmp_eq_u32_e64 s[2:3], 0, v24
	v_cmp_ne_u32_e64 s[4:5], 0, v20
	s_mov_b64 s[0:1], 0xffffffff
	s_or_b64 s[4:5], s[2:3], s[4:5]
	v_cmp_lt_u64_e64 s[0:1], s[0:1], v[20:21]
	v_cndmask_b32_e64 v21, -1, v20, s[4:5]
	v_add_u32_e32 v26, 1, v21
	v_sub_u32_e32 v25, 0, v24
	v_not_b32_e32 v24, v24
	v_cndmask_b32_e64 v27, v26, v21, s[2:3]
	v_cndmask_b32_e64 v20, v26, v20, s[2:3]
	s_and_b64 s[0:1], s[4:5], s[0:1]
	v_lshrrev_b32_e32 v23, 28, v19
	v_cndmask_b32_e64 v26, v21, v27, s[0:1]
	v_cndmask_b32_e64 v20, v21, v20, s[0:1]
	;; [unrolled: 1-line block ×3, first 2 shown]
	v_cmp_eq_u32_e64 s[2:3], 0, v20
	v_sub_u32_e32 v20, v21, v23
	v_cmp_lt_u32_e64 s[0:1], v21, v23
	v_add_co_u32_e64 v23, s[4:5], 1, v20
	v_cndmask_b32_e64 v21, -2, -1, s[4:5]
	s_and_b64 s[0:1], s[0:1], s[2:3]
	v_cndmask_b32_e64 v21, v26, v21, s[0:1]
	v_cndmask_b32_e64 v20, v20, v23, s[0:1]
.LBB0_263:
	s_or_b64 exec, exec, s[12:13]
.LBB0_264:
	s_or_saveexec_b64 s[2:3], s[10:11]
	s_mov_b64 s[0:1], 0
	s_xor_b64 exec, exec, s[2:3]
; %bb.265:
	v_cmp_eq_u32_e64 s[0:1], 24, v22
	s_and_b64 s[0:1], s[0:1], exec
	v_pk_mov_b32 v[20:21], v[18:19], v[18:19] op_sel:[0,1]
; %bb.266:
	s_or_b64 exec, exec, s[2:3]
	s_and_b64 s[2:3], s[0:1], exec
	s_andn2_saveexec_b64 s[4:5], s[8:9]
	s_cbranch_execz .LBB0_6
.LBB0_267:
	v_cmp_eq_u32_e64 s[0:1], 12, v22
	s_andn2_b64 s[2:3], s[2:3], exec
	s_and_b64 s[0:1], s[0:1], exec
	s_or_b64 s[2:3], s[2:3], s[0:1]
	v_pk_mov_b32 v[20:21], v[18:19], v[18:19] op_sel:[0,1]
	s_or_b64 exec, exec, s[4:5]
	s_and_saveexec_b64 s[8:9], s[2:3]
	s_cbranch_execnz .LBB0_7
	s_branch .LBB0_8
.LBB0_268:
	s_movk_i32 s0, 0x47
	v_cmp_lt_i32_e32 vcc, s0, v6
                                        ; implicit-def: $vgpr4_vgpr5
	s_and_saveexec_b64 s[0:1], vcc
	s_xor_b64 s[10:11], exec, s[0:1]
	s_cbranch_execz .LBB0_274
; %bb.269:
	s_movk_i32 s0, 0x53
	v_cmp_lt_i32_e32 vcc, s0, v6
	s_mov_b64 s[0:1], 0
	s_and_saveexec_b64 s[2:3], vcc
	s_xor_b64 s[2:3], exec, s[2:3]
	s_cbranch_execnz .LBB0_297
; %bb.270:
	s_andn2_saveexec_b64 s[2:3], s[2:3]
	s_cbranch_execnz .LBB0_298
.LBB0_271:
	s_or_b64 exec, exec, s[2:3]
	v_pk_mov_b32 v[4:5], v[2:3], v[2:3] op_sel:[0,1]
	s_and_saveexec_b64 s[12:13], s[0:1]
	s_cbranch_execz .LBB0_273
.LBB0_272:
	v_sub_u32_e32 v4, 0x80, v6
	v_lshrrev_b64 v[4:5], v4, v[2:3]
	v_sub_u32_e32 v5, 0x60, v6
	v_lshrrev_b64 v[8:9], v5, v[2:3]
	v_subrev_u32_e32 v5, 64, v6
	v_lshlrev_b64 v[10:11], v5, v[2:3]
	v_sub_u32_e32 v5, 0, v10
	v_cmp_lt_u32_e32 vcc, v5, v8
	v_sub_u32_e32 v5, v5, v8
	v_cmp_eq_u32_e64 s[0:1], 0, v10
	v_cmp_eq_u32_e64 s[2:3], -1, v5
	v_cndmask_b32_e64 v7, -2, -1, s[2:3]
	s_and_b64 vcc, vcc, s[0:1]
	v_cndmask_b32_e32 v7, v10, v7, vcc
	v_addc_co_u32_e64 v5, s[0:1], 0, v5, vcc
	v_sub_u32_e32 v8, v7, v4
	v_add_u32_e32 v9, -1, v8
	v_add_co_u32_e32 v10, vcc, 1, v5
	v_cndmask_b32_e32 v9, v9, v8, vcc
	v_cmp_lt_u32_e32 vcc, v7, v4
	v_cndmask_b32_e32 v4, v5, v10, vcc
	v_cndmask_b32_e32 v5, v8, v9, vcc
.LBB0_273:
	s_or_b64 exec, exec, s[12:13]
.LBB0_274:
	s_or_saveexec_b64 s[0:1], s[10:11]
	s_mov_b64 s[2:3], 0
	s_xor_b64 exec, exec, s[0:1]
	s_cbranch_execz .LBB0_280
; %bb.275:
	v_cmp_lt_i32_e32 vcc, 59, v6
	s_and_saveexec_b64 s[10:11], vcc
	s_xor_b64 s[10:11], exec, s[10:11]
; %bb.276:
	v_cmp_eq_u32_e32 vcc, 60, v6
	s_and_b64 s[2:3], vcc, exec
; %bb.277:
	s_andn2_saveexec_b64 s[10:11], s[10:11]
; %bb.278:
	v_cmp_eq_u32_e32 vcc, 48, v6
	s_andn2_b64 s[2:3], s[2:3], exec
	s_and_b64 s[12:13], vcc, exec
	s_or_b64 s[2:3], s[2:3], s[12:13]
; %bb.279:
	s_or_b64 exec, exec, s[10:11]
	s_and_b64 s[2:3], s[2:3], exec
	v_pk_mov_b32 v[4:5], v[2:3], v[2:3] op_sel:[0,1]
.LBB0_280:
	s_or_b64 exec, exec, s[0:1]
	s_and_b64 s[0:1], s[2:3], exec
	s_or_saveexec_b64 s[2:3], s[8:9]
	s_mov_b64 s[8:9], 0
	s_xor_b64 exec, exec, s[2:3]
	s_cbranch_execz .LBB0_38
.LBB0_281:
	v_cmp_lt_i32_e32 vcc, 23, v6
	s_mov_b64 s[10:11], 0
	s_mov_b64 s[8:9], -1
	s_mov_b64 s[12:13], s[0:1]
                                        ; implicit-def: $vgpr4_vgpr5
	s_and_saveexec_b64 s[4:5], vcc
	s_cbranch_execz .LBB0_285
; %bb.282:
	v_cmp_lt_i32_e32 vcc, 35, v6
	s_mov_b64 s[10:11], -1
	s_mov_b64 s[12:13], s[0:1]
	s_and_saveexec_b64 s[8:9], vcc
; %bb.283:
	v_cmp_eq_u32_e32 vcc, 36, v6
	s_andn2_b64 s[12:13], s[0:1], exec
	s_and_b64 s[14:15], vcc, exec
	s_xor_b64 s[10:11], exec, -1
	s_or_b64 s[12:13], s[12:13], s[14:15]
; %bb.284:
	s_or_b64 exec, exec, s[8:9]
	s_andn2_b64 s[14:15], s[0:1], exec
	s_and_b64 s[12:13], s[12:13], exec
	s_xor_b64 s[8:9], exec, -1
	s_and_b64 s[10:11], s[10:11], exec
	s_or_b64 s[12:13], s[14:15], s[12:13]
	v_pk_mov_b32 v[4:5], v[2:3], v[2:3] op_sel:[0,1]
.LBB0_285:
	s_or_b64 exec, exec, s[4:5]
	s_and_b64 s[4:5], s[10:11], exec
	s_andn2_b64 s[0:1], s[0:1], exec
	s_and_b64 s[10:11], s[12:13], exec
	s_and_b64 s[8:9], s[8:9], exec
	s_or_b64 s[0:1], s[0:1], s[10:11]
	s_or_b64 exec, exec, s[2:3]
	v_sub_u32_e32 v7, 64, v6
	s_and_saveexec_b64 s[10:11], s[0:1]
	s_cbranch_execz .LBB0_39
.LBB0_286:
	v_sub_u32_e32 v4, 0x60, v6
	v_lshrrev_b64 v[4:5], v4, v[2:3]
	v_subrev_u32_e32 v5, 32, v6
	v_lshrrev_b64 v[8:9], v7, v[2:3]
	v_lshlrev_b64 v[10:11], v5, v[2:3]
	v_add_co_u32_e32 v10, vcc, v8, v10
	v_addc_co_u32_e64 v11, s[0:1], 0, 0, vcc
	s_mov_b64 s[0:1], 0xffffffff
	v_cmp_lt_u64_e32 vcc, s[0:1], v[10:11]
	v_cmp_eq_u32_e64 s[0:1], 0, v8
	v_cmp_ne_u32_e64 s[2:3], 0, v10
	s_or_b64 s[2:3], s[0:1], s[2:3]
	v_cndmask_b32_e64 v5, -1, v10, s[2:3]
	v_sub_u32_e32 v9, 0, v8
	v_not_b32_e32 v8, v8
	v_add_u32_e32 v11, 1, v5
	s_and_b64 vcc, s[2:3], vcc
	v_cndmask_b32_e64 v12, v11, v5, s[0:1]
	v_cndmask_b32_e64 v10, v11, v10, s[0:1]
	v_cndmask_b32_e32 v8, v9, v8, vcc
	v_cndmask_b32_e32 v11, v5, v12, vcc
	;; [unrolled: 1-line block ×3, first 2 shown]
	v_cmp_lt_u32_e32 vcc, v8, v4
	v_sub_u32_e32 v4, v8, v4
	v_cmp_eq_u32_e64 s[0:1], 0, v5
	v_add_co_u32_e64 v8, s[2:3], 1, v4
	v_cndmask_b32_e64 v5, -2, -1, s[2:3]
	s_and_b64 vcc, vcc, s[0:1]
	v_cndmask_b32_e32 v5, v11, v5, vcc
	v_cndmask_b32_e32 v4, v4, v8, vcc
	s_or_b64 exec, exec, s[10:11]
	s_mov_b64 s[0:1], 0
	s_and_saveexec_b64 s[2:3], s[4:5]
	s_cbranch_execz .LBB0_40
.LBB0_287:
	v_cmp_eq_u32_e32 vcc, 24, v6
	s_and_b64 s[0:1], vcc, exec
	v_pk_mov_b32 v[4:5], v[2:3], v[2:3] op_sel:[0,1]
	s_or_b64 exec, exec, s[2:3]
	s_and_saveexec_b64 s[2:3], s[8:9]
	s_cbranch_execz .LBB0_41
.LBB0_288:
	v_cmp_eq_u32_e32 vcc, 12, v6
	s_andn2_b64 s[0:1], s[0:1], exec
	s_and_b64 s[4:5], vcc, exec
	s_or_b64 s[0:1], s[0:1], s[4:5]
	v_pk_mov_b32 v[4:5], v[2:3], v[2:3] op_sel:[0,1]
	s_or_b64 exec, exec, s[2:3]
	s_and_saveexec_b64 s[4:5], s[0:1]
	s_cbranch_execnz .LBB0_42
	s_branch .LBB0_43
.LBB0_289:
	v_cmp_lt_i32_e32 vcc, 59, v12
	s_and_saveexec_b64 s[8:9], vcc
	s_xor_b64 s[8:9], exec, s[8:9]
; %bb.290:
	v_cmp_eq_u32_e32 vcc, 60, v12
	s_and_b64 s[2:3], vcc, exec
; %bb.291:
	s_andn2_saveexec_b64 s[8:9], s[8:9]
; %bb.292:
	v_cmp_eq_u32_e32 vcc, 48, v12
	s_andn2_b64 s[2:3], s[2:3], exec
	s_and_b64 s[10:11], vcc, exec
	s_or_b64 s[2:3], s[2:3], s[10:11]
; %bb.293:
	s_or_b64 exec, exec, s[8:9]
	s_and_b64 s[2:3], s[2:3], exec
	s_andn2_saveexec_b64 s[0:1], s[0:1]
	s_cbranch_execz .LBB0_13
.LBB0_294:
	v_cmp_eq_u32_e32 vcc, 36, v12
	s_andn2_b64 s[2:3], s[2:3], exec
	s_and_b64 s[8:9], vcc, exec
	s_or_b64 s[2:3], s[2:3], s[8:9]
	s_or_b64 exec, exec, s[0:1]
	s_and_saveexec_b64 s[8:9], s[2:3]
	s_cbranch_execnz .LBB0_14
	s_branch .LBB0_15
.LBB0_295:
	v_cmp_eq_u32_e32 vcc, 24, v12
	s_and_b64 s[0:1], vcc, exec
	s_andn2_saveexec_b64 s[2:3], s[2:3]
	s_cbranch_execz .LBB0_19
.LBB0_296:
	v_cmp_eq_u32_e32 vcc, 12, v12
	s_andn2_b64 s[0:1], s[0:1], exec
	s_and_b64 s[8:9], vcc, exec
	s_or_b64 s[0:1], s[0:1], s[8:9]
	s_or_b64 exec, exec, s[2:3]
	s_and_saveexec_b64 s[8:9], s[0:1]
	s_cbranch_execnz .LBB0_20
	s_branch .LBB0_21
.LBB0_297:
	s_movk_i32 s0, 0x54
	v_cmp_eq_u32_e32 vcc, s0, v6
	s_and_b64 s[0:1], vcc, exec
	s_andn2_saveexec_b64 s[2:3], s[2:3]
	s_cbranch_execz .LBB0_271
.LBB0_298:
	s_movk_i32 s12, 0x48
	v_cmp_eq_u32_e32 vcc, s12, v6
	s_andn2_b64 s[0:1], s[0:1], exec
	s_and_b64 s[12:13], vcc, exec
	s_or_b64 s[0:1], s[0:1], s[12:13]
	s_or_b64 exec, exec, s[2:3]
	v_pk_mov_b32 v[4:5], v[2:3], v[2:3] op_sel:[0,1]
	s_and_saveexec_b64 s[12:13], s[0:1]
	s_cbranch_execnz .LBB0_272
	s_branch .LBB0_273
	.section	.rodata,"a",@progbits
	.p2align	6, 0x0
	.amdhsa_kernel _Z17intt_3_64k_modcrtPjPKm
		.amdhsa_group_segment_fixed_size 4096
		.amdhsa_private_segment_fixed_size 0
		.amdhsa_kernarg_size 16
		.amdhsa_user_sgpr_count 6
		.amdhsa_user_sgpr_private_segment_buffer 1
		.amdhsa_user_sgpr_dispatch_ptr 0
		.amdhsa_user_sgpr_queue_ptr 0
		.amdhsa_user_sgpr_kernarg_segment_ptr 1
		.amdhsa_user_sgpr_dispatch_id 0
		.amdhsa_user_sgpr_flat_scratch_init 0
		.amdhsa_user_sgpr_kernarg_preload_length 0
		.amdhsa_user_sgpr_kernarg_preload_offset 0
		.amdhsa_user_sgpr_private_segment_size 0
		.amdhsa_uses_dynamic_stack 0
		.amdhsa_system_sgpr_private_segment_wavefront_offset 0
		.amdhsa_system_sgpr_workgroup_id_x 1
		.amdhsa_system_sgpr_workgroup_id_y 0
		.amdhsa_system_sgpr_workgroup_id_z 0
		.amdhsa_system_sgpr_workgroup_info 0
		.amdhsa_system_vgpr_workitem_id 0
		.amdhsa_next_free_vgpr 37
		.amdhsa_next_free_sgpr 17
		.amdhsa_accum_offset 40
		.amdhsa_reserve_vcc 1
		.amdhsa_reserve_flat_scratch 0
		.amdhsa_float_round_mode_32 0
		.amdhsa_float_round_mode_16_64 0
		.amdhsa_float_denorm_mode_32 3
		.amdhsa_float_denorm_mode_16_64 3
		.amdhsa_dx10_clamp 1
		.amdhsa_ieee_mode 1
		.amdhsa_fp16_overflow 0
		.amdhsa_tg_split 0
		.amdhsa_exception_fp_ieee_invalid_op 0
		.amdhsa_exception_fp_denorm_src 0
		.amdhsa_exception_fp_ieee_div_zero 0
		.amdhsa_exception_fp_ieee_overflow 0
		.amdhsa_exception_fp_ieee_underflow 0
		.amdhsa_exception_fp_ieee_inexact 0
		.amdhsa_exception_int_div_zero 0
	.end_amdhsa_kernel
	.text
.Lfunc_end0:
	.size	_Z17intt_3_64k_modcrtPjPKm, .Lfunc_end0-_Z17intt_3_64k_modcrtPjPKm
                                        ; -- End function
	.section	.AMDGPU.csdata,"",@progbits
; Kernel info:
; codeLenInByte = 11200
; NumSgprs: 21
; NumVgprs: 37
; NumAgprs: 0
; TotalNumVgprs: 37
; ScratchSize: 0
; MemoryBound: 0
; FloatMode: 240
; IeeeMode: 1
; LDSByteSize: 4096 bytes/workgroup (compile time only)
; SGPRBlocks: 2
; VGPRBlocks: 4
; NumSGPRsForWavesPerEU: 21
; NumVGPRsForWavesPerEU: 37
; AccumOffset: 40
; Occupancy: 8
; WaveLimiterHint : 0
; COMPUTE_PGM_RSRC2:SCRATCH_EN: 0
; COMPUTE_PGM_RSRC2:USER_SGPR: 6
; COMPUTE_PGM_RSRC2:TRAP_HANDLER: 0
; COMPUTE_PGM_RSRC2:TGID_X_EN: 1
; COMPUTE_PGM_RSRC2:TGID_Y_EN: 0
; COMPUTE_PGM_RSRC2:TGID_Z_EN: 0
; COMPUTE_PGM_RSRC2:TIDIG_COMP_CNT: 0
; COMPUTE_PGM_RSRC3_GFX90A:ACCUM_OFFSET: 9
; COMPUTE_PGM_RSRC3_GFX90A:TG_SPLIT: 0
	.text
	.p2alignl 6, 3212836864
	.fill 256, 4, 3212836864
	.type	__hip_cuid_6dedab3b426d438e,@object ; @__hip_cuid_6dedab3b426d438e
	.section	.bss,"aw",@nobits
	.globl	__hip_cuid_6dedab3b426d438e
__hip_cuid_6dedab3b426d438e:
	.byte	0                               ; 0x0
	.size	__hip_cuid_6dedab3b426d438e, 1

	.ident	"AMD clang version 19.0.0git (https://github.com/RadeonOpenCompute/llvm-project roc-6.4.0 25133 c7fe45cf4b819c5991fe208aaa96edf142730f1d)"
	.section	".note.GNU-stack","",@progbits
	.addrsig
	.addrsig_sym __hip_cuid_6dedab3b426d438e
	.amdgpu_metadata
---
amdhsa.kernels:
  - .agpr_count:     0
    .args:
      - .actual_access:  write_only
        .address_space:  global
        .offset:         0
        .size:           8
        .value_kind:     global_buffer
      - .actual_access:  read_only
        .address_space:  global
        .offset:         8
        .size:           8
        .value_kind:     global_buffer
    .group_segment_fixed_size: 4096
    .kernarg_segment_align: 8
    .kernarg_segment_size: 16
    .language:       OpenCL C
    .language_version:
      - 2
      - 0
    .max_flat_workgroup_size: 1024
    .name:           _Z17intt_3_64k_modcrtPjPKm
    .private_segment_fixed_size: 0
    .sgpr_count:     21
    .sgpr_spill_count: 0
    .symbol:         _Z17intt_3_64k_modcrtPjPKm.kd
    .uniform_work_group_size: 1
    .uses_dynamic_stack: false
    .vgpr_count:     37
    .vgpr_spill_count: 0
    .wavefront_size: 64
amdhsa.target:   amdgcn-amd-amdhsa--gfx90a
amdhsa.version:
  - 1
  - 2
...

	.end_amdgpu_metadata
